;; amdgpu-corpus repo=ROCm/rocFFT kind=compiled arch=gfx906 opt=O3
	.text
	.amdgcn_target "amdgcn-amd-amdhsa--gfx906"
	.amdhsa_code_object_version 6
	.protected	fft_rtc_fwd_len595_factors_7_17_5_wgs_51_tpt_17_halfLds_sp_op_CI_CI_unitstride_sbrr_dirReg ; -- Begin function fft_rtc_fwd_len595_factors_7_17_5_wgs_51_tpt_17_halfLds_sp_op_CI_CI_unitstride_sbrr_dirReg
	.globl	fft_rtc_fwd_len595_factors_7_17_5_wgs_51_tpt_17_halfLds_sp_op_CI_CI_unitstride_sbrr_dirReg
	.p2align	8
	.type	fft_rtc_fwd_len595_factors_7_17_5_wgs_51_tpt_17_halfLds_sp_op_CI_CI_unitstride_sbrr_dirReg,@function
fft_rtc_fwd_len595_factors_7_17_5_wgs_51_tpt_17_halfLds_sp_op_CI_CI_unitstride_sbrr_dirReg: ; @fft_rtc_fwd_len595_factors_7_17_5_wgs_51_tpt_17_halfLds_sp_op_CI_CI_unitstride_sbrr_dirReg
; %bb.0:
	v_mul_u32_u24_e32 v1, 0xf10, v0
	s_load_dwordx4 s[8:11], s[4:5], 0x58
	s_load_dwordx4 s[12:15], s[4:5], 0x0
	;; [unrolled: 1-line block ×3, first 2 shown]
	v_lshrrev_b32_e32 v1, 16, v1
	v_mad_u64_u32 v[10:11], s[0:1], s6, 3, v[1:2]
	v_mov_b32_e32 v3, 0
	s_waitcnt lgkmcnt(0)
	v_cmp_lt_u64_e64 s[0:1], s[14:15], 2
	v_mov_b32_e32 v12, 0
	v_mov_b32_e32 v11, v3
	;; [unrolled: 1-line block ×5, first 2 shown]
	s_and_b64 vcc, exec, s[0:1]
	v_mov_b32_e32 v2, v13
	v_mov_b32_e32 v5, v11
	s_cbranch_vccnz .LBB0_8
; %bb.1:
	s_load_dwordx2 s[0:1], s[4:5], 0x10
	s_add_u32 s2, s18, 8
	s_addc_u32 s3, s19, 0
	s_add_u32 s6, s16, 8
	s_addc_u32 s7, s17, 0
	v_mov_b32_e32 v12, 0
	s_waitcnt lgkmcnt(0)
	s_add_u32 s20, s0, 8
	v_mov_b32_e32 v13, 0
	v_mov_b32_e32 v1, v12
	;; [unrolled: 1-line block ×3, first 2 shown]
	s_addc_u32 s21, s1, 0
	s_mov_b64 s[22:23], 1
	v_mov_b32_e32 v2, v13
	v_mov_b32_e32 v7, v11
.LBB0_2:                                ; =>This Inner Loop Header: Depth=1
	s_load_dwordx2 s[24:25], s[20:21], 0x0
	s_waitcnt lgkmcnt(0)
	v_or_b32_e32 v4, s25, v7
	v_cmp_ne_u64_e32 vcc, 0, v[3:4]
                                        ; implicit-def: $vgpr4_vgpr5
	s_and_saveexec_b64 s[0:1], vcc
	s_xor_b64 s[26:27], exec, s[0:1]
	s_cbranch_execz .LBB0_4
; %bb.3:                                ;   in Loop: Header=BB0_2 Depth=1
	v_cvt_f32_u32_e32 v4, s24
	v_cvt_f32_u32_e32 v5, s25
	s_sub_u32 s0, 0, s24
	s_subb_u32 s1, 0, s25
	v_mac_f32_e32 v4, 0x4f800000, v5
	v_rcp_f32_e32 v4, v4
	v_mul_f32_e32 v4, 0x5f7ffffc, v4
	v_mul_f32_e32 v5, 0x2f800000, v4
	v_trunc_f32_e32 v5, v5
	v_mac_f32_e32 v4, 0xcf800000, v5
	v_cvt_u32_f32_e32 v5, v5
	v_cvt_u32_f32_e32 v4, v4
	v_mul_lo_u32 v8, s0, v5
	v_mul_hi_u32 v9, s0, v4
	v_mul_lo_u32 v14, s1, v4
	v_mul_lo_u32 v11, s0, v4
	v_add_u32_e32 v8, v9, v8
	v_add_u32_e32 v8, v8, v14
	v_mul_hi_u32 v9, v4, v11
	v_mul_lo_u32 v14, v4, v8
	v_mul_hi_u32 v16, v4, v8
	v_mul_hi_u32 v15, v5, v11
	v_mul_lo_u32 v11, v5, v11
	v_mul_hi_u32 v17, v5, v8
	v_add_co_u32_e32 v9, vcc, v9, v14
	v_addc_co_u32_e32 v14, vcc, 0, v16, vcc
	v_mul_lo_u32 v8, v5, v8
	v_add_co_u32_e32 v9, vcc, v9, v11
	v_addc_co_u32_e32 v9, vcc, v14, v15, vcc
	v_addc_co_u32_e32 v11, vcc, 0, v17, vcc
	v_add_co_u32_e32 v8, vcc, v9, v8
	v_addc_co_u32_e32 v9, vcc, 0, v11, vcc
	v_add_co_u32_e32 v4, vcc, v4, v8
	v_addc_co_u32_e32 v5, vcc, v5, v9, vcc
	v_mul_lo_u32 v8, s0, v5
	v_mul_hi_u32 v9, s0, v4
	v_mul_lo_u32 v11, s1, v4
	v_mul_lo_u32 v14, s0, v4
	v_add_u32_e32 v8, v9, v8
	v_add_u32_e32 v8, v8, v11
	v_mul_lo_u32 v15, v4, v8
	v_mul_hi_u32 v16, v4, v14
	v_mul_hi_u32 v17, v4, v8
	;; [unrolled: 1-line block ×3, first 2 shown]
	v_mul_lo_u32 v14, v5, v14
	v_mul_hi_u32 v9, v5, v8
	v_add_co_u32_e32 v15, vcc, v16, v15
	v_addc_co_u32_e32 v16, vcc, 0, v17, vcc
	v_mul_lo_u32 v8, v5, v8
	v_add_co_u32_e32 v14, vcc, v15, v14
	v_addc_co_u32_e32 v11, vcc, v16, v11, vcc
	v_addc_co_u32_e32 v9, vcc, 0, v9, vcc
	v_add_co_u32_e32 v8, vcc, v11, v8
	v_addc_co_u32_e32 v9, vcc, 0, v9, vcc
	v_add_co_u32_e32 v8, vcc, v4, v8
	v_addc_co_u32_e32 v9, vcc, v5, v9, vcc
	v_mad_u64_u32 v[4:5], s[0:1], v6, v9, 0
	v_mul_hi_u32 v11, v6, v8
	v_add_co_u32_e32 v11, vcc, v11, v4
	v_addc_co_u32_e32 v14, vcc, 0, v5, vcc
	v_mad_u64_u32 v[4:5], s[0:1], v7, v8, 0
	v_mad_u64_u32 v[8:9], s[0:1], v7, v9, 0
	v_add_co_u32_e32 v4, vcc, v11, v4
	v_addc_co_u32_e32 v4, vcc, v14, v5, vcc
	v_addc_co_u32_e32 v5, vcc, 0, v9, vcc
	v_add_co_u32_e32 v8, vcc, v4, v8
	v_addc_co_u32_e32 v9, vcc, 0, v5, vcc
	v_mul_lo_u32 v11, s25, v8
	v_mul_lo_u32 v14, s24, v9
	v_mad_u64_u32 v[4:5], s[0:1], s24, v8, 0
	v_add3_u32 v5, v5, v14, v11
	v_sub_u32_e32 v11, v7, v5
	v_mov_b32_e32 v14, s25
	v_sub_co_u32_e32 v4, vcc, v6, v4
	v_subb_co_u32_e64 v11, s[0:1], v11, v14, vcc
	v_subrev_co_u32_e64 v14, s[0:1], s24, v4
	v_subbrev_co_u32_e64 v11, s[0:1], 0, v11, s[0:1]
	v_cmp_le_u32_e64 s[0:1], s25, v11
	v_cndmask_b32_e64 v15, 0, -1, s[0:1]
	v_cmp_le_u32_e64 s[0:1], s24, v14
	v_cndmask_b32_e64 v14, 0, -1, s[0:1]
	v_cmp_eq_u32_e64 s[0:1], s25, v11
	v_cndmask_b32_e64 v11, v15, v14, s[0:1]
	v_add_co_u32_e64 v14, s[0:1], 2, v8
	v_addc_co_u32_e64 v15, s[0:1], 0, v9, s[0:1]
	v_add_co_u32_e64 v16, s[0:1], 1, v8
	v_addc_co_u32_e64 v17, s[0:1], 0, v9, s[0:1]
	v_subb_co_u32_e32 v5, vcc, v7, v5, vcc
	v_cmp_ne_u32_e64 s[0:1], 0, v11
	v_cmp_le_u32_e32 vcc, s25, v5
	v_cndmask_b32_e64 v11, v17, v15, s[0:1]
	v_cndmask_b32_e64 v15, 0, -1, vcc
	v_cmp_le_u32_e32 vcc, s24, v4
	v_cndmask_b32_e64 v4, 0, -1, vcc
	v_cmp_eq_u32_e32 vcc, s25, v5
	v_cndmask_b32_e32 v4, v15, v4, vcc
	v_cmp_ne_u32_e32 vcc, 0, v4
	v_cndmask_b32_e64 v4, v16, v14, s[0:1]
	v_cndmask_b32_e32 v5, v9, v11, vcc
	v_cndmask_b32_e32 v4, v8, v4, vcc
.LBB0_4:                                ;   in Loop: Header=BB0_2 Depth=1
	s_andn2_saveexec_b64 s[0:1], s[26:27]
	s_cbranch_execz .LBB0_6
; %bb.5:                                ;   in Loop: Header=BB0_2 Depth=1
	v_cvt_f32_u32_e32 v4, s24
	s_sub_i32 s26, 0, s24
	v_rcp_iflag_f32_e32 v4, v4
	v_mul_f32_e32 v4, 0x4f7ffffe, v4
	v_cvt_u32_f32_e32 v4, v4
	v_mul_lo_u32 v5, s26, v4
	v_mul_hi_u32 v5, v4, v5
	v_add_u32_e32 v4, v4, v5
	v_mul_hi_u32 v4, v6, v4
	v_mul_lo_u32 v5, v4, s24
	v_add_u32_e32 v8, 1, v4
	v_sub_u32_e32 v5, v6, v5
	v_subrev_u32_e32 v9, s24, v5
	v_cmp_le_u32_e32 vcc, s24, v5
	v_cndmask_b32_e32 v5, v5, v9, vcc
	v_cndmask_b32_e32 v4, v4, v8, vcc
	v_add_u32_e32 v8, 1, v4
	v_cmp_le_u32_e32 vcc, s24, v5
	v_cndmask_b32_e32 v4, v4, v8, vcc
	v_mov_b32_e32 v5, v3
.LBB0_6:                                ;   in Loop: Header=BB0_2 Depth=1
	s_or_b64 exec, exec, s[0:1]
	v_mul_lo_u32 v11, v5, s24
	v_mul_lo_u32 v14, v4, s25
	v_mad_u64_u32 v[8:9], s[0:1], v4, s24, 0
	s_load_dwordx2 s[0:1], s[6:7], 0x0
	s_load_dwordx2 s[24:25], s[2:3], 0x0
	v_add3_u32 v9, v9, v14, v11
	v_sub_co_u32_e32 v6, vcc, v6, v8
	v_subb_co_u32_e32 v7, vcc, v7, v9, vcc
	s_waitcnt lgkmcnt(0)
	v_mul_lo_u32 v8, s0, v7
	v_mul_lo_u32 v9, s1, v6
	v_mad_u64_u32 v[12:13], s[0:1], s0, v6, v[12:13]
	v_mul_lo_u32 v7, s24, v7
	v_mul_lo_u32 v11, s25, v6
	v_mad_u64_u32 v[1:2], s[0:1], s24, v6, v[1:2]
	s_add_u32 s22, s22, 1
	s_addc_u32 s23, s23, 0
	s_add_u32 s2, s2, 8
	v_add3_u32 v2, v11, v2, v7
	s_addc_u32 s3, s3, 0
	v_mov_b32_e32 v6, s14
	s_add_u32 s6, s6, 8
	v_mov_b32_e32 v7, s15
	s_addc_u32 s7, s7, 0
	v_cmp_ge_u64_e32 vcc, s[22:23], v[6:7]
	s_add_u32 s20, s20, 8
	v_add3_u32 v13, v9, v13, v8
	s_addc_u32 s21, s21, 0
	s_cbranch_vccnz .LBB0_8
; %bb.7:                                ;   in Loop: Header=BB0_2 Depth=1
	v_mov_b32_e32 v7, v5
	v_mov_b32_e32 v6, v4
	s_branch .LBB0_2
.LBB0_8:
	s_load_dwordx2 s[0:1], s[4:5], 0x28
	s_lshl_b64 s[6:7], s[14:15], 3
	s_add_u32 s2, s18, s6
	s_addc_u32 s3, s19, s7
                                        ; implicit-def: $sgpr14_sgpr15
                                        ; implicit-def: $vgpr123
	s_waitcnt lgkmcnt(0)
	v_cmp_gt_u64_e32 vcc, s[0:1], v[4:5]
	v_cmp_le_u64_e64 s[0:1], s[0:1], v[4:5]
	s_and_saveexec_b64 s[4:5], s[0:1]
	s_xor_b64 s[0:1], exec, s[4:5]
; %bb.9:
	s_mov_b32 s4, 0xf0f0f10
	v_mul_hi_u32 v3, v0, s4
	s_mov_b64 s[14:15], 0
                                        ; implicit-def: $vgpr12_vgpr13
	v_mul_u32_u24_e32 v3, 17, v3
	v_sub_u32_e32 v123, v0, v3
                                        ; implicit-def: $vgpr0
; %bb.10:
	s_or_saveexec_b64 s[4:5], s[0:1]
	v_mov_b32_e32 v64, s15
	v_mov_b32_e32 v112, s15
	;; [unrolled: 1-line block ×40, first 2 shown]
                                        ; implicit-def: $vgpr72
                                        ; implicit-def: $vgpr82
                                        ; implicit-def: $vgpr98
                                        ; implicit-def: $vgpr37
                                        ; implicit-def: $vgpr21
                                        ; implicit-def: $vgpr47
                                        ; implicit-def: $vgpr19
                                        ; implicit-def: $vgpr9
                                        ; implicit-def: $vgpr7
                                        ; implicit-def: $vgpr15
                                        ; implicit-def: $vgpr43
                                        ; implicit-def: $vgpr31
                                        ; implicit-def: $vgpr102
                                        ; implicit-def: $vgpr92
                                        ; implicit-def: $vgpr84
	s_xor_b64 exec, exec, s[4:5]
	s_cbranch_execz .LBB0_12
; %bb.11:
	s_add_u32 s0, s16, s6
	s_addc_u32 s1, s17, s7
	s_load_dwordx2 s[0:1], s[0:1], 0x0
	s_mov_b32 s6, 0xf0f0f10
	v_mul_hi_u32 v3, v0, s6
	s_waitcnt lgkmcnt(0)
	v_mul_lo_u32 v8, s1, v4
	v_mul_lo_u32 v9, s0, v5
	v_mad_u64_u32 v[6:7], s[0:1], s0, v4, 0
	v_mul_u32_u24_e32 v3, 17, v3
	v_sub_u32_e32 v123, v0, v3
	v_add3_u32 v7, v7, v9, v8
	v_lshlrev_b64 v[6:7], 3, v[6:7]
	v_mov_b32_e32 v0, s9
	v_add_co_u32_e64 v3, s[0:1], s8, v6
	v_addc_co_u32_e64 v0, s[0:1], v0, v7, s[0:1]
	v_lshlrev_b64 v[6:7], 3, v[12:13]
	v_add_co_u32_e64 v3, s[0:1], v3, v6
	v_addc_co_u32_e64 v0, s[0:1], v0, v7, s[0:1]
	v_lshlrev_b32_e32 v6, 3, v123
	v_add_co_u32_e64 v8, s[0:1], v3, v6
	v_addc_co_u32_e64 v9, s[0:1], 0, v0, s[0:1]
	s_movk_i32 s0, 0x1000
	v_add_co_u32_e64 v11, s[0:1], s0, v8
	v_addc_co_u32_e64 v12, s[0:1], 0, v9, s[0:1]
	v_or_b32_e32 v6, 0x1100, v6
	v_add_co_u32_e64 v55, s[0:1], v3, v6
	global_load_dwordx2 v[40:41], v[8:9], off offset:952
	global_load_dwordx2 v[20:21], v[8:9], off offset:3672
	v_addc_co_u32_e64 v56, s[0:1], 0, v0, s[0:1]
	global_load_dwordx2 v[93:94], v[8:9], off
	global_load_dwordx2 v[53:54], v[8:9], off offset:136
	global_load_dwordx2 v[44:45], v[8:9], off offset:272
	;; [unrolled: 1-line block ×29, first 2 shown]
                                        ; kill: killed $vgpr8 killed $vgpr9
	global_load_dwordx2 v[42:43], v[11:12], off offset:392
	global_load_dwordx2 v[46:47], v[55:56], off
	s_nop 0
	global_load_dwordx2 v[8:9], v[11:12], off offset:528
.LBB0_12:
	s_or_b64 exec, exec, s[4:5]
	s_mov_b32 s0, 0xaaaaaaab
	v_mul_hi_u32 v0, v10, s0
	s_waitcnt vmcnt(2)
	v_add_f32_e32 v3, v42, v32
	v_add_f32_e32 v12, v30, v34
	;; [unrolled: 1-line block ×3, first 2 shown]
	v_lshrrev_b32_e32 v0, 1, v0
	v_lshl_add_u32 v0, v0, 1, v0
	v_sub_u32_e32 v0, v10, v0
	v_sub_f32_e32 v10, v35, v31
	v_sub_f32_e32 v52, v39, v19
	v_add_f32_e32 v55, v3, v12
	v_sub_f32_e32 v11, v33, v43
	v_sub_f32_e32 v56, v12, v3
	;; [unrolled: 1-line block ×4, first 2 shown]
	v_add_f32_e32 v13, v55, v13
	v_add_f32_e32 v55, v10, v52
	v_sub_f32_e32 v57, v52, v10
	v_sub_f32_e32 v52, v11, v52
	;; [unrolled: 1-line block ×3, first 2 shown]
	v_add_f32_e32 v11, v11, v55
	v_add_f32_e32 v55, v13, v26
	v_mov_b32_e32 v58, v55
	v_mul_u32_u24_e32 v0, 0x253, v0
	v_fmac_f32_e32 v58, 0xbf955555, v13
	s_mov_b32 s6, 0x3f5ff5aa
	s_mov_b32 s9, 0x3f3bfb3b
	;; [unrolled: 1-line block ×4, first 2 shown]
	v_mul_f32_e32 v12, 0x3d64c772, v12
	v_mul_f32_e32 v13, 0xbf08b237, v57
	;; [unrolled: 1-line block ×4, first 2 shown]
	v_lshlrev_b32_e32 v124, 2, v0
	v_fma_f32 v26, v56, s8, -v26
	v_fma_f32 v56, v56, s9, -v12
	;; [unrolled: 1-line block ×4, first 2 shown]
	v_add_u32_e32 v125, 0, v124
	v_add_f32_e32 v56, v56, v58
	v_add_f32_e32 v59, v26, v58
	v_fmac_f32_e32 v10, 0x3ee1c552, v11
	v_fmac_f32_e32 v57, 0x3ee1c552, v11
	v_mad_u32_u24 v26, v123, 28, v125
	v_add_f32_e32 v0, v59, v57
	v_sub_f32_e32 v60, v56, v10
	v_add_u32_e32 v61, 0x59c, v26
	ds_write2_b32 v61, v0, v60 offset1:1
	v_add_f32_e32 v0, v56, v10
	v_sub_f32_e32 v10, v59, v57
	v_add_u32_e32 v56, 0x5a4, v26
	ds_write2_b32 v56, v0, v10 offset1:1
	s_waitcnt vmcnt(1)
	v_add_f32_e32 v0, v46, v40
	v_add_f32_e32 v10, v20, v48
	;; [unrolled: 1-line block ×4, first 2 shown]
	v_sub_f32_e32 v59, v10, v0
	v_sub_f32_e32 v0, v0, v56
	;; [unrolled: 1-line block ×3, first 2 shown]
	v_add_f32_e32 v56, v57, v56
	v_sub_f32_e32 v60, v49, v21
	v_sub_f32_e32 v61, v51, v37
	;; [unrolled: 1-line block ×3, first 2 shown]
	v_add_f32_e32 v62, v60, v61
	v_sub_f32_e32 v65, v61, v60
	v_add_f32_e32 v44, v56, v44
	v_fmac_f32_e32 v13, 0x3eae86e6, v52
	v_sub_f32_e32 v61, v57, v61
	v_sub_f32_e32 v60, v60, v57
	v_add_f32_e32 v57, v57, v62
	v_mov_b32_e32 v62, v44
	v_fmac_f32_e32 v12, 0x3f4a47b2, v3
	v_fmac_f32_e32 v13, 0x3ee1c552, v11
	v_mul_f32_e32 v10, 0x3d64c772, v10
	v_mul_f32_e32 v11, 0xbf08b237, v65
	v_fmac_f32_e32 v62, 0xbf955555, v56
	v_add_f32_e32 v3, v12, v58
	v_fma_f32 v12, v59, s9, -v10
	v_fmac_f32_e32 v10, 0x3f4a47b2, v0
	v_fma_f32 v52, v60, s6, -v11
	v_fmac_f32_e32 v11, 0x3eae86e6, v61
	v_add_f32_e32 v10, v10, v62
	v_fmac_f32_e32 v11, 0x3ee1c552, v57
	v_sub_f32_e32 v56, v10, v11
	v_sub_f32_e32 v58, v3, v13
	v_add_u32_e32 v65, 0x200, v26
	ds_write2_b32 v65, v56, v58 offset0:116 offset1:235
	v_add_f32_e32 v56, v97, v63
	v_add_f32_e32 v58, v81, v111
	;; [unrolled: 1-line block ×4, first 2 shown]
	v_sub_f32_e32 v68, v112, v82
	v_sub_f32_e32 v73, v110, v72
	;; [unrolled: 1-line block ×5, first 2 shown]
	v_add_f32_e32 v65, v66, v65
	v_sub_f32_e32 v66, v64, v98
	v_add_f32_e32 v74, v68, v73
	v_sub_f32_e32 v75, v73, v68
	v_sub_f32_e32 v73, v66, v73
	;; [unrolled: 1-line block ×3, first 2 shown]
	v_add_f32_e32 v66, v66, v74
	v_add_f32_e32 v74, v65, v93
	v_mov_b32_e32 v76, v74
	v_mul_f32_e32 v58, 0x3d64c772, v58
	v_fmac_f32_e32 v76, 0xbf955555, v65
	v_mul_f32_e32 v65, 0xbf08b237, v75
	v_fma_f32 v75, v67, s9, -v58
	v_fmac_f32_e32 v58, 0x3f4a47b2, v56
	v_mul_f32_e32 v56, 0x3f4a47b2, v56
	v_fma_f32 v56, v67, s8, -v56
	v_mul_f32_e32 v67, 0x3f5ff5aa, v68
	v_fma_f32 v79, v68, s6, -v65
	v_fma_f32 v67, v73, s7, -v67
	v_fmac_f32_e32 v65, 0x3eae86e6, v73
	v_add_f32_e32 v68, v75, v76
	v_add_f32_e32 v56, v56, v76
	v_fmac_f32_e32 v79, 0x3ee1c552, v66
	v_fmac_f32_e32 v67, 0x3ee1c552, v66
	;; [unrolled: 1-line block ×3, first 2 shown]
	v_add_f32_e32 v66, v56, v67
	v_sub_f32_e32 v73, v68, v79
	ds_write2_b32 v26, v66, v73 offset0:2 offset1:3
	v_add_f32_e32 v66, v68, v79
	v_sub_f32_e32 v56, v56, v67
	v_add_f32_e32 v58, v58, v76
	ds_write2_b32 v26, v66, v56 offset0:4 offset1:5
	v_add_f32_e32 v56, v101, v77
	v_add_f32_e32 v66, v91, v87
	;; [unrolled: 1-line block ×5, first 2 shown]
	ds_write2_b32 v26, v74, v80 offset1:1
	v_sub_f32_e32 v73, v66, v56
	v_sub_f32_e32 v56, v56, v67
	;; [unrolled: 1-line block ×3, first 2 shown]
	v_add_f32_e32 v67, v68, v67
	v_sub_f32_e32 v74, v88, v92
	v_sub_f32_e32 v75, v70, v84
	;; [unrolled: 1-line block ×3, first 2 shown]
	v_add_f32_e32 v76, v74, v75
	v_add_f32_e32 v53, v67, v53
	v_sub_f32_e32 v79, v75, v74
	v_sub_f32_e32 v75, v68, v75
	;; [unrolled: 1-line block ×3, first 2 shown]
	v_add_f32_e32 v68, v68, v76
	v_mov_b32_e32 v76, v53
	v_fmac_f32_e32 v76, 0xbf955555, v67
	v_mul_f32_e32 v66, 0x3d64c772, v66
	v_mul_f32_e32 v67, 0xbf08b237, v79
	v_fma_f32 v79, v73, s9, -v66
	v_fmac_f32_e32 v66, 0x3f4a47b2, v56
	v_fma_f32 v80, v74, s6, -v67
	v_fmac_f32_e32 v67, 0x3eae86e6, v75
	v_add_f32_e32 v66, v66, v76
	v_fmac_f32_e32 v67, 0x3ee1c552, v68
	v_add_f32_e32 v10, v10, v11
	v_add_f32_e32 v85, v66, v67
	ds_write2_b32 v26, v44, v10 offset0:238 offset1:239
	v_mul_f32_e32 v0, 0x3f4a47b2, v0
	v_mul_f32_e32 v10, 0x3f5ff5aa, v60
	ds_write2_b32 v26, v53, v85 offset0:119 offset1:120
	v_mul_f32_e32 v53, 0x3f4a47b2, v56
	v_mul_f32_e32 v56, 0x3f5ff5aa, v74
	v_fma_f32 v0, v59, s8, -v0
	v_fma_f32 v10, v61, s7, -v10
	;; [unrolled: 1-line block ×4, first 2 shown]
	v_add_f32_e32 v11, v12, v62
	v_add_f32_e32 v0, v0, v62
	v_fmac_f32_e32 v52, 0x3ee1c552, v57
	v_fmac_f32_e32 v10, 0x3ee1c552, v57
	v_add_f32_e32 v73, v79, v76
	v_add_f32_e32 v53, v53, v76
	v_fmac_f32_e32 v80, 0x3ee1c552, v68
	v_fmac_f32_e32 v56, 0x3ee1c552, v68
	v_sub_f32_e32 v12, v11, v52
	v_add_f32_e32 v44, v0, v10
	v_add_f32_e32 v68, v53, v56
	v_sub_f32_e32 v74, v73, v80
	v_add_f32_e32 v11, v11, v52
	v_sub_f32_e32 v0, v0, v10
	v_add_f32_e32 v3, v3, v13
	ds_write2_b32 v26, v44, v12 offset0:240 offset1:241
	s_waitcnt vmcnt(0)
	v_add_f32_e32 v10, v8, v22
	v_add_f32_e32 v12, v6, v24
	v_add_u32_e32 v44, 0x594, v26
	ds_write2_b32 v26, v68, v74 offset0:121 offset1:122
	v_add_f32_e32 v68, v73, v80
	v_sub_f32_e32 v53, v53, v56
	ds_write2_b32 v26, v11, v0 offset0:242 offset1:243
	v_add_f32_e32 v0, v14, v28
	ds_write2_b32 v44, v55, v3 offset1:1
	v_add_f32_e32 v3, v10, v12
	ds_write2_b32 v26, v68, v53 offset0:123 offset1:124
	v_sub_f32_e32 v53, v58, v65
	v_sub_f32_e32 v56, v66, v67
	;; [unrolled: 1-line block ×5, first 2 shown]
	v_add_f32_e32 v0, v3, v0
	v_sub_f32_e32 v13, v25, v7
	v_sub_f32_e32 v52, v29, v15
	ds_write2_b32 v26, v53, v56 offset0:6 offset1:125
	v_sub_f32_e32 v3, v23, v9
	v_add_f32_e32 v53, v13, v52
	v_add_f32_e32 v16, v0, v16
	v_sub_f32_e32 v55, v52, v13
	v_sub_f32_e32 v52, v3, v52
	;; [unrolled: 1-line block ×3, first 2 shown]
	v_add_f32_e32 v3, v3, v53
	v_mov_b32_e32 v53, v16
	v_fmac_f32_e32 v53, 0xbf955555, v0
	v_mul_f32_e32 v0, 0x3d64c772, v12
	v_fma_f32 v12, v11, s9, -v0
	v_fmac_f32_e32 v0, 0x3f4a47b2, v10
	v_mul_f32_e32 v10, 0x3f4a47b2, v10
	v_fma_f32 v10, v11, s8, -v10
	v_mul_f32_e32 v11, 0xbf08b237, v55
	v_mul_f32_e32 v55, 0x3f5ff5aa, v13
	v_fma_f32 v13, v13, s6, -v11
	v_fmac_f32_e32 v11, 0x3eae86e6, v52
	v_fma_f32 v52, v52, s7, -v55
	v_add_f32_e32 v12, v12, v53
	v_fmac_f32_e32 v13, 0x3ee1c552, v3
	v_add_f32_e32 v0, v0, v53
	v_add_f32_e32 v10, v10, v53
	v_fmac_f32_e32 v11, 0x3ee1c552, v3
	v_fmac_f32_e32 v52, 0x3ee1c552, v3
	v_sub_f32_e32 v3, v12, v13
	v_add_f32_e32 v12, v12, v13
	v_add_u32_e32 v13, 0x77c, v26
	ds_write_b32 v26, v16 offset:1904
	v_add_f32_e32 v16, v0, v11
	v_add_f32_e32 v55, v10, v52
	ds_write2_b32 v13, v3, v12 offset1:1
	v_sub_f32_e32 v3, v10, v52
	v_sub_f32_e32 v10, v0, v11
	v_add_u32_e32 v0, 0x784, v26
	ds_write2_b32 v0, v3, v10 offset1:1
	v_lshlrev_b32_e32 v3, 2, v123
	v_add_u32_e32 v56, 0x774, v26
	v_add_u32_e32 v0, v125, v3
	v_add3_u32 v93, 0, v3, v124
	ds_write2_b32 v56, v16, v55 offset1:1
	s_load_dwordx2 s[2:3], s[2:3], 0x0
	s_waitcnt lgkmcnt(0)
	; wave barrier
	s_waitcnt lgkmcnt(0)
	v_add_u32_e32 v16, 0x400, v93
	v_add_u32_e32 v126, 0x600, v93
	;; [unrolled: 1-line block ×3, first 2 shown]
	ds_read_b32 v140, v0
	ds_read_b32 v142, v93 offset:2308
	ds_read2_b32 v[12:13], v93 offset0:17 offset1:35
	ds_read2_b32 v[121:122], v93 offset0:52 offset1:70
	;; [unrolled: 1-line block ×16, first 2 shown]
	v_add_u32_e32 v130, 0x1dc, v26
	v_add_u32_e32 v129, 0x3b8, v26
	;; [unrolled: 1-line block ×3, first 2 shown]
	v_cmp_eq_u32_e64 s[0:1], 0, v123
                                        ; implicit-def: $vgpr141
                                        ; implicit-def: $vgpr67
                                        ; implicit-def: $vgpr65
                                        ; implicit-def: $vgpr61
                                        ; implicit-def: $vgpr59
                                        ; implicit-def: $vgpr53
                                        ; implicit-def: $vgpr56
                                        ; implicit-def: $vgpr58
	s_and_saveexec_b64 s[4:5], s[0:1]
	s_cbranch_execz .LBB0_14
; %bb.13:
	v_add_u32_e32 v52, 0x200, v125
	ds_read2_b32 v[10:11], v125 offset0:34 offset1:69
	ds_read2_b32 v[67:68], v125 offset0:104 offset1:139
	;; [unrolled: 1-line block ×4, first 2 shown]
	v_add_u32_e32 v52, 0x400, v125
	ds_read2_b32 v[59:60], v52 offset0:58 offset1:93
	ds_read2_b32 v[57:58], v52 offset0:128 offset1:163
	;; [unrolled: 1-line block ×3, first 2 shown]
	v_add_u32_e32 v52, 0x800, v125
	ds_read2_b32 v[52:53], v52 offset0:12 offset1:47
	ds_read_b32 v141, v125 offset:2376
.LBB0_14:
	s_or_b64 exec, exec, s[4:5]
	v_add_f32_e32 v64, v98, v64
	v_add_f32_e32 v82, v82, v112
	v_sub_f32_e32 v63, v63, v97
	v_add_f32_e32 v72, v72, v110
	v_add_f32_e32 v97, v64, v82
	v_sub_f32_e32 v81, v111, v81
	v_sub_f32_e32 v71, v109, v71
	;; [unrolled: 1-line block ×5, first 2 shown]
	v_add_f32_e32 v72, v97, v72
	v_add_f32_e32 v109, v81, v71
	v_sub_f32_e32 v110, v71, v81
	v_add_f32_e32 v94, v72, v94
	v_add_f32_e32 v41, v47, v41
	v_add_f32_e32 v21, v21, v49
	v_sub_f32_e32 v71, v63, v71
	v_sub_f32_e32 v81, v81, v63
	v_add_f32_e32 v63, v63, v109
	v_mul_f32_e32 v82, 0x3d64c772, v82
	v_mul_f32_e32 v109, 0xbf08b237, v110
	v_mov_b32_e32 v111, v94
	v_sub_f32_e32 v40, v40, v46
	v_add_f32_e32 v37, v37, v51
	v_add_f32_e32 v46, v41, v21
	v_mul_f32_e32 v110, 0x3f5ff5aa, v81
	v_fmac_f32_e32 v111, 0xbf955555, v72
	v_fma_f32 v72, v98, s9, -v82
	v_fma_f32 v81, v81, s6, -v109
	v_sub_f32_e32 v20, v48, v20
	v_sub_f32_e32 v36, v50, v36
	;; [unrolled: 1-line block ×5, first 2 shown]
	v_add_f32_e32 v37, v46, v37
	v_mul_f32_e32 v97, 0x3f4a47b2, v64
	v_add_f32_e32 v72, v72, v111
	v_fmac_f32_e32 v81, 0x3ee1c552, v63
	v_add_f32_e32 v48, v20, v36
	v_sub_f32_e32 v49, v36, v20
	v_add_f32_e32 v45, v37, v45
	v_fmac_f32_e32 v82, 0x3f4a47b2, v64
	v_fma_f32 v64, v98, s8, -v97
	v_fmac_f32_e32 v109, 0x3eae86e6, v71
	v_fma_f32 v71, v71, s7, -v110
	v_add_f32_e32 v98, v81, v72
	v_sub_f32_e32 v72, v72, v81
	v_add_f32_e32 v78, v102, v78
	v_add_f32_e32 v81, v92, v88
	v_sub_f32_e32 v36, v40, v36
	v_sub_f32_e32 v20, v20, v40
	v_add_f32_e32 v40, v40, v48
	v_mul_f32_e32 v21, 0x3d64c772, v21
	v_mul_f32_e32 v48, 0xbf08b237, v49
	v_mov_b32_e32 v50, v45
	v_add_f32_e32 v33, v43, v33
	v_add_f32_e32 v31, v31, v35
	;; [unrolled: 1-line block ×6, first 2 shown]
	v_fmac_f32_e32 v109, 0x3ee1c552, v63
	v_fmac_f32_e32 v71, 0x3ee1c552, v63
	v_add_f32_e32 v70, v84, v70
	v_sub_f32_e32 v69, v69, v83
	v_add_f32_e32 v83, v78, v81
	v_mul_f32_e32 v49, 0x3f5ff5aa, v20
	v_fmac_f32_e32 v50, 0xbf955555, v37
	v_fma_f32 v37, v47, s9, -v21
	v_fma_f32 v20, v20, s6, -v48
	v_sub_f32_e32 v30, v34, v30
	v_add_f32_e32 v19, v19, v39
	v_add_f32_e32 v34, v33, v31
	v_sub_f32_e32 v8, v22, v8
	v_add_f32_e32 v15, v15, v29
	v_add_f32_e32 v22, v9, v7
	v_sub_f32_e32 v63, v82, v109
	v_sub_f32_e32 v97, v64, v71
	v_add_f32_e32 v64, v71, v64
	v_add_f32_e32 v71, v109, v82
	v_sub_f32_e32 v77, v77, v101
	v_sub_f32_e32 v82, v87, v91
	;; [unrolled: 1-line block ×5, first 2 shown]
	v_add_f32_e32 v70, v83, v70
	v_mul_f32_e32 v46, 0x3f4a47b2, v41
	v_add_f32_e32 v37, v37, v50
	v_fmac_f32_e32 v20, 0x3ee1c552, v40
	v_sub_f32_e32 v32, v32, v42
	v_sub_f32_e32 v18, v38, v18
	;; [unrolled: 1-line block ×5, first 2 shown]
	v_add_f32_e32 v19, v34, v19
	v_sub_f32_e32 v6, v24, v6
	v_sub_f32_e32 v14, v28, v14
	;; [unrolled: 1-line block ×5, first 2 shown]
	v_add_f32_e32 v15, v22, v15
	v_add_f32_e32 v87, v82, v69
	v_sub_f32_e32 v88, v69, v82
	v_sub_f32_e32 v82, v82, v77
	v_add_f32_e32 v54, v70, v54
	v_fmac_f32_e32 v21, 0x3f4a47b2, v41
	v_fma_f32 v41, v47, s8, -v46
	v_add_f32_e32 v47, v20, v37
	v_sub_f32_e32 v20, v37, v20
	v_add_f32_e32 v37, v30, v18
	v_sub_f32_e32 v38, v18, v30
	v_sub_f32_e32 v30, v30, v32
	v_add_f32_e32 v27, v19, v27
	v_add_f32_e32 v24, v6, v14
	v_sub_f32_e32 v25, v14, v6
	v_sub_f32_e32 v6, v6, v8
	v_add_f32_e32 v17, v15, v17
	v_sub_f32_e32 v69, v77, v69
	v_add_f32_e32 v77, v77, v87
	v_mul_f32_e32 v83, 0x3f4a47b2, v78
	v_mul_f32_e32 v81, 0x3d64c772, v81
	v_mul_f32_e32 v87, 0xbf08b237, v88
	v_mul_f32_e32 v88, 0x3f5ff5aa, v82
	v_mov_b32_e32 v91, v54
	v_sub_f32_e32 v18, v32, v18
	v_add_f32_e32 v32, v32, v37
	v_mul_f32_e32 v34, 0x3f4a47b2, v33
	v_mul_f32_e32 v31, 0x3d64c772, v31
	v_mul_f32_e32 v37, 0xbf08b237, v38
	v_mul_f32_e32 v38, 0x3f5ff5aa, v30
	v_mov_b32_e32 v39, v27
	;; [unrolled: 7-line block ×3, first 2 shown]
	v_fmac_f32_e32 v91, 0xbf955555, v70
	v_fma_f32 v70, v84, s9, -v81
	v_fmac_f32_e32 v81, 0x3f4a47b2, v78
	v_fma_f32 v78, v84, s8, -v83
	v_fma_f32 v82, v82, s6, -v87
	v_fmac_f32_e32 v87, 0x3eae86e6, v69
	v_fma_f32 v69, v69, s7, -v88
	v_fmac_f32_e32 v48, 0x3eae86e6, v36
	;; [unrolled: 2-line block ×4, first 2 shown]
	v_fma_f32 v33, v35, s8, -v34
	v_fma_f32 v30, v30, s6, -v37
	v_fmac_f32_e32 v37, 0x3eae86e6, v18
	v_fma_f32 v18, v18, s7, -v38
	v_fmac_f32_e32 v28, 0xbf955555, v15
	;; [unrolled: 2-line block ×3, first 2 shown]
	v_fma_f32 v9, v23, s8, -v22
	v_fma_f32 v6, v6, s6, -v24
	v_fmac_f32_e32 v24, 0x3eae86e6, v14
	v_fma_f32 v14, v14, s7, -v25
	v_add_f32_e32 v70, v70, v91
	v_add_f32_e32 v78, v78, v91
	v_fmac_f32_e32 v82, 0x3ee1c552, v77
	v_fmac_f32_e32 v69, 0x3ee1c552, v77
	v_add_f32_e32 v21, v21, v50
	v_add_f32_e32 v41, v41, v50
	v_fmac_f32_e32 v48, 0x3ee1c552, v40
	v_fmac_f32_e32 v36, 0x3ee1c552, v40
	v_add_f32_e32 v31, v31, v39
	v_add_f32_e32 v19, v19, v39
	;; [unrolled: 1-line block ×3, first 2 shown]
	v_fmac_f32_e32 v37, 0x3ee1c552, v32
	v_fmac_f32_e32 v30, 0x3ee1c552, v32
	;; [unrolled: 1-line block ×3, first 2 shown]
	v_add_f32_e32 v7, v7, v28
	v_add_f32_e32 v9, v9, v28
	v_fmac_f32_e32 v24, 0x3ee1c552, v8
	v_fmac_f32_e32 v14, 0x3ee1c552, v8
	v_add_f32_e32 v81, v81, v91
	v_fmac_f32_e32 v87, 0x3ee1c552, v77
	v_sub_f32_e32 v83, v78, v69
	v_add_f32_e32 v84, v82, v70
	v_sub_f32_e32 v70, v70, v82
	v_add_f32_e32 v69, v69, v78
	v_sub_f32_e32 v40, v21, v48
	v_sub_f32_e32 v46, v41, v36
	v_add_f32_e32 v36, v36, v41
	v_sub_f32_e32 v32, v31, v37
	;; [unrolled: 3-line block ×3, first 2 shown]
	v_add_f32_e32 v30, v37, v31
	v_add_f32_e32 v15, v15, v28
	v_fmac_f32_e32 v6, 0x3ee1c552, v8
	v_sub_f32_e32 v8, v7, v24
	v_sub_f32_e32 v22, v9, v14
	v_add_f32_e32 v9, v14, v9
	v_sub_f32_e32 v77, v81, v87
	v_add_f32_e32 v78, v87, v81
	v_add_f32_e32 v21, v48, v21
	;; [unrolled: 1-line block ×4, first 2 shown]
	v_sub_f32_e32 v15, v15, v6
	v_add_f32_e32 v6, v24, v7
	s_waitcnt lgkmcnt(0)
	; wave barrier
	s_waitcnt lgkmcnt(0)
	ds_write2_b32 v26, v94, v63 offset1:1
	ds_write2_b32 v26, v97, v98 offset0:2 offset1:3
	ds_write2_b32 v26, v72, v64 offset0:4 offset1:5
	ds_write_b32 v26, v71 offset:24
	ds_write2_b32 v130, v54, v77 offset1:1
	ds_write2_b32 v130, v83, v84 offset0:2 offset1:3
	ds_write2_b32 v130, v70, v69 offset0:4 offset1:5
	ds_write_b32 v130, v78 offset:24
	;; [unrolled: 4-line block ×4, first 2 shown]
	ds_write_b32 v128, v17
	ds_write2_b32 v128, v8, v22 offset0:1 offset1:2
	ds_write2_b32 v128, v23, v15 offset0:3 offset1:4
	;; [unrolled: 1-line block ×3, first 2 shown]
	s_waitcnt lgkmcnt(0)
	; wave barrier
	s_waitcnt lgkmcnt(0)
	ds_read2_b32 v[8:9], v93 offset0:17 offset1:35
	ds_read2_b32 v[71:72], v93 offset0:52 offset1:70
	;; [unrolled: 1-line block ×16, first 2 shown]
	ds_read_b32 v94, v0
	ds_read_b32 v54, v93 offset:2308
                                        ; implicit-def: $vgpr26
                                        ; implicit-def: $vgpr24
                                        ; implicit-def: $vgpr22
                                        ; implicit-def: $vgpr20
                                        ; implicit-def: $vgpr143
                                        ; implicit-def: $vgpr15
                                        ; implicit-def: $vgpr17
                                        ; implicit-def: $vgpr19
	s_and_saveexec_b64 s[4:5], s[0:1]
	s_cbranch_execz .LBB0_16
; %bb.15:
	v_add_u32_e32 v14, 0x200, v125
	ds_read2_b32 v[6:7], v125 offset0:34 offset1:69
	ds_read2_b32 v[26:27], v125 offset0:104 offset1:139
	;; [unrolled: 1-line block ×4, first 2 shown]
	v_add_u32_e32 v14, 0x400, v125
	ds_read2_b32 v[20:21], v14 offset0:58 offset1:93
	ds_read2_b32 v[18:19], v14 offset0:128 offset1:163
	;; [unrolled: 1-line block ×3, first 2 shown]
	v_add_u32_e32 v14, 0x800, v125
	ds_read2_b32 v[14:15], v14 offset0:12 offset1:47
	ds_read_b32 v143, v125 offset:2376
.LBB0_16:
	s_or_b64 exec, exec, s[4:5]
	v_mov_b32_e32 v200, 37
	v_mul_lo_u16_sdwa v77, v123, v200 dst_sel:DWORD dst_unused:UNUSED_PAD src0_sel:BYTE_0 src1_sel:DWORD
	v_sub_u16_sdwa v78, v123, v77 dst_sel:DWORD dst_unused:UNUSED_PAD src0_sel:DWORD src1_sel:BYTE_1
	v_lshrrev_b16_e32 v78, 1, v78
	v_and_b32_e32 v78, 0x7f, v78
	v_add_u16_sdwa v77, v78, v77 dst_sel:DWORD dst_unused:UNUSED_PAD src0_sel:DWORD src1_sel:BYTE_1
	v_lshrrev_b16_e32 v136, 2, v77
	v_mul_lo_u16_e32 v77, 7, v136
	v_sub_u16_e32 v137, v123, v77
	v_mov_b32_e32 v201, 7
	v_lshlrev_b32_sdwa v77, v201, v137 dst_sel:DWORD dst_unused:UNUSED_PAD src0_sel:DWORD src1_sel:BYTE_0
	global_load_dwordx4 v[81:84], v77, s[12:13]
	global_load_dwordx4 v[132:135], v77, s[12:13] offset:16
	global_load_dwordx4 v[144:147], v77, s[12:13] offset:32
	;; [unrolled: 1-line block ×7, first 2 shown]
	v_add_u32_e32 v77, 17, v123
	v_mul_lo_u16_sdwa v87, v77, v200 dst_sel:DWORD dst_unused:UNUSED_PAD src0_sel:BYTE_0 src1_sel:DWORD
	v_sub_u16_sdwa v88, v77, v87 dst_sel:DWORD dst_unused:UNUSED_PAD src0_sel:DWORD src1_sel:BYTE_1
	v_lshrrev_b16_e32 v88, 1, v88
	v_and_b32_e32 v88, 0x7f, v88
	v_add_u16_sdwa v87, v88, v87 dst_sel:DWORD dst_unused:UNUSED_PAD src0_sel:DWORD src1_sel:BYTE_1
	v_lshrrev_b16_e32 v138, 2, v87
	v_mul_lo_u16_e32 v87, 7, v138
	v_sub_u16_e32 v139, v77, v87
	v_lshlrev_b32_sdwa v87, v201, v139 dst_sel:DWORD dst_unused:UNUSED_PAD src0_sel:DWORD src1_sel:BYTE_0
	global_load_dwordx4 v[168:171], v87, s[12:13] offset:48
	global_load_dwordx4 v[172:175], v87, s[12:13] offset:32
	;; [unrolled: 1-line block ×3, first 2 shown]
	global_load_dwordx4 v[180:183], v87, s[12:13]
	global_load_dwordx4 v[184:187], v87, s[12:13] offset:112
	global_load_dwordx4 v[188:191], v87, s[12:13] offset:96
	;; [unrolled: 1-line block ×4, first 2 shown]
	v_add_u32_e32 v78, 34, v123
	s_mov_b32 s17, 0xbf7ba420
	s_mov_b32 s14, 0x3f6eb680
	;; [unrolled: 1-line block ×8, first 2 shown]
	s_movk_i32 s4, 0x1dc
	s_waitcnt vmcnt(15)
	v_mul_f32_e32 v130, v13, v82
	s_waitcnt lgkmcnt(14)
	v_mul_f32_e32 v91, v9, v82
	v_fmac_f32_e32 v130, v9, v81
	v_mul_lo_u16_sdwa v9, v78, v200 dst_sel:DWORD dst_unused:UNUSED_PAD src0_sel:BYTE_0 src1_sel:DWORD
	v_fma_f32 v131, v13, v81, -v91
	v_sub_u16_sdwa v13, v78, v9 dst_sel:DWORD dst_unused:UNUSED_PAD src0_sel:DWORD src1_sel:BYTE_1
	v_lshrrev_b16_e32 v13, 1, v13
	v_and_b32_e32 v13, 0x7f, v13
	v_add_u16_sdwa v9, v13, v9 dst_sel:DWORD dst_unused:UNUSED_PAD src0_sel:DWORD src1_sel:BYTE_1
	v_lshrrev_b16_e32 v9, 2, v9
	s_waitcnt vmcnt(11)
	v_mul_f32_e32 v88, v104, v153
	v_mul_lo_u16_e32 v9, 7, v9
	s_waitcnt lgkmcnt(13)
	v_mul_f32_e32 v101, v51, v145
	v_mul_f32_e32 v111, v116, v145
	s_waitcnt lgkmcnt(9)
	v_mul_f32_e32 v145, v43, v153
	s_waitcnt vmcnt(9)
	v_mul_f32_e32 v126, v86, v161
	v_fmac_f32_e32 v88, v43, v152
	v_sub_u16_e32 v43, v78, v9
	v_mul_f32_e32 v82, v72, v84
	v_mul_f32_e32 v128, v122, v84
	v_mul_f32_e32 v84, v70, v133
	v_mul_f32_e32 v127, v120, v133
	v_mul_f32_e32 v92, v64, v135
	v_mul_f32_e32 v125, v118, v135
	v_mul_f32_e32 v110, v49, v147
	v_mul_f32_e32 v102, v114, v147
	v_mul_f32_e32 v133, v47, v149
	v_mul_f32_e32 v97, v108, v149
	v_mul_f32_e32 v135, v45, v151
	v_mul_f32_e32 v87, v106, v151
	s_waitcnt lgkmcnt(8)
	v_mul_f32_e32 v147, v41, v155
	s_waitcnt lgkmcnt(7)
	v_mul_f32_e32 v149, v39, v157
	;; [unrolled: 2-line block ×4, first 2 shown]
	v_fmac_f32_e32 v126, v35, v160
	v_lshlrev_b32_sdwa v35, v201, v43 dst_sel:DWORD dst_unused:UNUSED_PAD src0_sel:DWORD src1_sel:BYTE_0
	s_waitcnt vmcnt(8) lgkmcnt(3)
	v_mul_f32_e32 v9, v31, v165
	v_mul_f32_e32 v98, v100, v155
	v_fma_f32 v120, v120, v132, -v84
	v_fmac_f32_e32 v127, v70, v132
	v_fma_f32 v118, v118, v134, -v92
	v_fma_f32 v116, v116, v144, -v101
	v_fmac_f32_e32 v111, v51, v144
	v_fma_f32 v110, v114, v146, -v110
	v_fmac_f32_e32 v102, v49, v146
	;; [unrolled: 2-line block ×4, first 2 shown]
	v_fma_f32 v92, v104, v152, -v145
	v_fma_f32 v100, v100, v154, -v147
	v_fma_f32 v104, v96, v156, -v149
	v_fma_f32 v106, v90, v158, -v151
	global_load_dwordx4 v[144:147], v35, s[12:13] offset:16
	global_load_dwordx4 v[148:151], v35, s[12:13]
	v_fma_f32 v132, v76, v164, -v9
	s_waitcnt lgkmcnt(2)
	v_mul_f32_e32 v9, v29, v167
	v_fmac_f32_e32 v125, v64, v134
	v_fma_f32 v134, v74, v166, -v9
	s_waitcnt vmcnt(6)
	v_mul_f32_e32 v9, v71, v181
	v_mul_f32_e32 v112, v90, v159
	v_fma_f32 v90, v121, v180, -v9
	v_mul_f32_e32 v9, v69, v183
	v_mul_f32_e32 v109, v96, v157
	;; [unrolled: 1-line block ×3, first 2 shown]
	v_fma_f32 v84, v119, v182, -v9
	v_mul_f32_e32 v9, v63, v177
	v_fma_f32 v129, v122, v83, -v82
	v_fmac_f32_e32 v98, v41, v154
	v_fmac_f32_e32 v109, v39, v156
	;; [unrolled: 1-line block ×3, first 2 shown]
	v_fma_f32 v108, v86, v160, -v153
	v_fma_f32 v114, v80, v162, -v155
	v_mul_f32_e32 v122, v80, v163
	v_mul_f32_e32 v133, v76, v165
	;; [unrolled: 1-line block ×3, first 2 shown]
	global_load_dwordx4 v[152:155], v35, s[12:13] offset:48
	global_load_dwordx4 v[156:159], v35, s[12:13] offset:32
	v_fma_f32 v82, v117, v176, -v9
	v_mul_f32_e32 v9, v50, v179
	v_fmac_f32_e32 v122, v33, v162
	v_fmac_f32_e32 v133, v31, v164
	;; [unrolled: 1-line block ×3, first 2 shown]
	v_fma_f32 v76, v115, v178, -v9
	v_mul_f32_e32 v9, v48, v173
	global_load_dwordx4 v[160:163], v35, s[12:13] offset:80
	global_load_dwordx4 v[164:167], v35, s[12:13] offset:64
	v_fma_f32 v49, v113, v172, -v9
	v_mul_f32_e32 v51, v113, v173
	v_mul_f32_e32 v9, v46, v175
	;; [unrolled: 1-line block ×3, first 2 shown]
	v_fmac_f32_e32 v51, v48, v172
	v_fma_f32 v48, v107, v174, -v9
	v_mul_f32_e32 v9, v44, v169
	v_fmac_f32_e32 v80, v50, v178
	v_mul_f32_e32 v50, v107, v175
	v_fma_f32 v37, v105, v168, -v9
	v_mul_f32_e32 v39, v105, v169
	v_mul_f32_e32 v9, v42, v171
	;; [unrolled: 1-line block ×3, first 2 shown]
	v_fmac_f32_e32 v50, v46, v174
	v_fmac_f32_e32 v39, v44, v168
	v_fma_f32 v9, v103, v170, -v9
	v_fmac_f32_e32 v13, v42, v170
	global_load_dwordx4 v[168:171], v35, s[12:13] offset:112
	global_load_dwordx4 v[172:175], v35, s[12:13] offset:96
	s_waitcnt vmcnt(8)
	v_mul_f32_e32 v29, v40, v197
	v_fma_f32 v33, v99, v196, -v29
	v_mul_f32_e32 v35, v99, v197
	v_mul_f32_e32 v29, v38, v199
	v_fmac_f32_e32 v35, v40, v196
	v_fma_f32 v40, v95, v198, -v29
	v_mul_f32_e32 v41, v95, v199
	v_mul_f32_e32 v29, v36, v193
	v_fmac_f32_e32 v41, v38, v198
	v_fma_f32 v38, v89, v192, -v29
	v_mul_f32_e32 v74, v89, v193
	v_mul_f32_e32 v29, v34, v195
	v_fmac_f32_e32 v74, v36, v192
	v_fma_f32 v36, v85, v194, -v29
	v_mul_f32_e32 v81, v85, v195
	v_mul_f32_e32 v29, v32, v189
	v_fmac_f32_e32 v81, v34, v194
	v_fma_f32 v34, v79, v188, -v29
	v_mul_f32_e32 v79, v79, v189
	v_mul_f32_e32 v29, v30, v191
	;; [unrolled: 1-line block ×3, first 2 shown]
	v_fmac_f32_e32 v128, v72, v83
	v_fmac_f32_e32 v79, v32, v188
	v_fma_f32 v32, v75, v190, -v29
	v_mul_f32_e32 v29, v28, v185
	v_fmac_f32_e32 v89, v28, v184
	s_waitcnt lgkmcnt(0)
	v_mul_f32_e32 v28, v54, v187
	v_mul_f32_e32 v86, v119, v183
	v_fma_f32 v95, v142, v186, -v28
	v_fmac_f32_e32 v86, v69, v182
	v_mul_f32_e32 v99, v142, v187
	s_waitcnt vmcnt(6)
	v_mul_f32_e32 v72, v11, v149
	v_mul_f32_e32 v28, v7, v149
	v_fmac_f32_e32 v72, v7, v148
	v_mul_f32_e32 v7, v26, v151
	v_fma_f32 v69, v67, v150, -v7
	v_mul_f32_e32 v7, v27, v145
	v_fma_f32 v64, v68, v144, -v7
	v_mul_f32_e32 v7, v24, v147
	v_mul_f32_e32 v96, v121, v181
	v_fmac_f32_e32 v99, v54, v186
	v_mul_f32_e32 v70, v67, v151
	v_fma_f32 v54, v65, v146, -v7
	v_fmac_f32_e32 v96, v71, v180
	v_fma_f32 v71, v11, v148, -v28
	v_fmac_f32_e32 v70, v26, v150
	v_fma_f32 v85, v73, v184, -v29
	v_mul_f32_e32 v67, v68, v145
	v_fmac_f32_e32 v67, v27, v144
	v_mul_f32_e32 v75, v75, v191
	v_mul_f32_e32 v83, v117, v177
	v_fmac_f32_e32 v75, v30, v190
	s_waitcnt vmcnt(5)
	v_mul_f32_e32 v26, v62, v153
	s_waitcnt vmcnt(4)
	v_mul_f32_e32 v7, v25, v157
	v_fma_f32 v44, v66, v156, -v7
	v_mul_f32_e32 v7, v22, v159
	v_fma_f32 v29, v61, v158, -v7
	v_mul_f32_e32 v7, v23, v153
	v_fmac_f32_e32 v26, v23, v152
	v_mul_f32_e32 v45, v66, v157
	v_mul_f32_e32 v30, v61, v159
	s_waitcnt vmcnt(2)
	v_mul_f32_e32 v11, v21, v165
	v_fma_f32 v23, v60, v164, -v11
	v_mul_f32_e32 v11, v18, v167
	v_fma_f32 v27, v57, v166, -v11
	;; [unrolled: 2-line block ×4, first 2 shown]
	v_mul_f32_e32 v47, v55, v163
	v_fmac_f32_e32 v83, v63, v176
	v_mul_f32_e32 v63, v65, v147
	v_fmac_f32_e32 v45, v25, v156
	v_fmac_f32_e32 v30, v22, v158
	v_fma_f32 v25, v62, v152, -v7
	v_mul_f32_e32 v22, v59, v155
	v_mul_f32_e32 v28, v57, v167
	v_fmac_f32_e32 v63, v24, v146
	s_waitcnt vmcnt(1)
	v_mul_f32_e32 v66, v53, v169
	s_waitcnt vmcnt(0)
	v_mul_f32_e32 v11, v17, v173
	v_fma_f32 v55, v56, v172, -v11
	v_mul_f32_e32 v11, v14, v175
	v_fma_f32 v61, v52, v174, -v11
	v_mul_f32_e32 v62, v52, v175
	v_mul_f32_e32 v11, v15, v169
	v_fmac_f32_e32 v66, v15, v168
	v_sub_f32_e32 v15, v130, v135
	v_mul_f32_e32 v7, v20, v155
	v_fmac_f32_e32 v22, v20, v154
	v_mul_f32_e32 v24, v60, v165
	v_fmac_f32_e32 v28, v18, v166
	;; [unrolled: 2-line block ×4, first 2 shown]
	v_add_f32_e32 v14, v131, v134
	v_mul_f32_e32 v16, 0xbeb8f4ab, v15
	v_mul_f32_e32 v18, 0xbf2c7751, v15
	;; [unrolled: 1-line block ×8, first 2 shown]
	v_fma_f32 v107, v14, s17, -v15
	v_fmac_f32_e32 v15, 0xbf7ba420, v14
	v_sub_f32_e32 v113, v128, v133
	v_fma_f32 v7, v59, v154, -v7
	v_fmac_f32_e32 v24, v21, v164
	v_fmac_f32_e32 v42, v19, v160
	;; [unrolled: 1-line block ×3, first 2 shown]
	v_fma_f32 v65, v53, v168, -v11
	v_fma_f32 v17, v14, s14, -v16
	v_fmac_f32_e32 v16, 0x3f6eb680, v14
	v_fma_f32 v19, v14, s8, -v18
	v_fmac_f32_e32 v18, 0x3f3d2fb0, v14
	;; [unrolled: 2-line block ×7, first 2 shown]
	v_add_f32_e32 v14, v140, v15
	v_add_f32_e32 v15, v129, v132
	v_mul_f32_e32 v115, 0xbf2c7751, v113
	v_add_f32_e32 v16, v140, v16
	v_fma_f32 v117, v15, s8, -v115
	v_fmac_f32_e32 v115, 0x3f3d2fb0, v15
	v_add_f32_e32 v17, v140, v17
	v_add_f32_e32 v16, v115, v16
	v_mul_f32_e32 v115, 0xbf7ee86f, v113
	v_add_f32_e32 v18, v140, v18
	v_add_f32_e32 v17, v117, v17
	v_fma_f32 v117, v15, s6, -v115
	v_fmac_f32_e32 v115, 0x3dbcf732, v15
	v_add_f32_e32 v19, v140, v19
	v_add_f32_e32 v18, v115, v18
	v_mul_f32_e32 v115, 0xbf4c4adb, v113
	v_add_f32_e32 v20, v140, v20
	;; [unrolled: 7-line block ×6, first 2 shown]
	v_add_f32_e32 v59, v117, v59
	v_fma_f32 v117, v15, s7, -v115
	v_fmac_f32_e32 v115, 0x3ee437d1, v15
	v_mul_f32_e32 v113, 0x3eb8f4ab, v113
	v_add_f32_e32 v103, v115, v103
	v_fma_f32 v115, v15, s14, -v113
	v_fmac_f32_e32 v113, 0x3f6eb680, v15
	v_add_f32_e32 v107, v140, v107
	v_add_f32_e32 v14, v113, v14
	v_sub_f32_e32 v113, v127, v122
	v_add_f32_e32 v105, v140, v105
	v_add_f32_e32 v107, v115, v107
	;; [unrolled: 1-line block ×3, first 2 shown]
	v_mul_f32_e32 v115, 0xbf65296c, v113
	v_add_f32_e32 v105, v117, v105
	v_fma_f32 v117, v15, s7, -v115
	v_fmac_f32_e32 v115, 0x3ee437d1, v15
	v_add_f32_e32 v16, v115, v16
	v_mul_f32_e32 v115, 0xbf4c4adb, v113
	v_add_f32_e32 v17, v117, v17
	v_fma_f32 v117, v15, s15, -v115
	v_fmac_f32_e32 v115, 0xbf1a4643, v15
	v_add_f32_e32 v18, v115, v18
	v_mul_f32_e32 v115, 0x3e3c28d5, v113
	v_add_f32_e32 v19, v117, v19
	v_fma_f32 v117, v15, s17, -v115
	v_fmac_f32_e32 v115, 0xbf7ba420, v15
	v_add_f32_e32 v20, v115, v20
	v_mul_f32_e32 v115, 0x3f763a35, v113
	v_add_f32_e32 v21, v117, v21
	v_fma_f32 v117, v15, s9, -v115
	v_fmac_f32_e32 v115, 0xbe8c1d8e, v15
	v_add_f32_e32 v52, v115, v52
	v_mul_f32_e32 v115, 0x3f2c7751, v113
	v_add_f32_e32 v53, v117, v53
	v_fma_f32 v117, v15, s8, -v115
	v_fmac_f32_e32 v115, 0x3f3d2fb0, v15
	v_add_f32_e32 v56, v115, v56
	v_mul_f32_e32 v115, 0xbeb8f4ab, v113
	v_add_f32_e32 v57, v117, v57
	v_fma_f32 v117, v15, s14, -v115
	v_fmac_f32_e32 v115, 0x3f6eb680, v15
	v_add_f32_e32 v58, v115, v58
	v_mul_f32_e32 v115, 0xbf7ee86f, v113
	v_add_f32_e32 v59, v117, v59
	v_fma_f32 v117, v15, s6, -v115
	v_fmac_f32_e32 v115, 0x3dbcf732, v15
	v_mul_f32_e32 v113, 0xbf06c442, v113
	v_add_f32_e32 v103, v115, v103
	v_fma_f32 v115, v15, s16, -v113
	v_fmac_f32_e32 v113, 0xbf59a7d5, v15
	v_add_f32_e32 v14, v113, v14
	v_sub_f32_e32 v113, v125, v126
	v_add_f32_e32 v107, v115, v107
	v_add_f32_e32 v15, v118, v108
	v_mul_f32_e32 v115, 0xbf7ee86f, v113
	v_add_f32_e32 v105, v117, v105
	v_fma_f32 v117, v15, s6, -v115
	v_fmac_f32_e32 v115, 0x3dbcf732, v15
	v_add_f32_e32 v16, v115, v16
	v_mul_f32_e32 v115, 0xbe3c28d5, v113
	v_add_f32_e32 v17, v117, v17
	v_fma_f32 v117, v15, s17, -v115
	v_fmac_f32_e32 v115, 0xbf7ba420, v15
	v_add_f32_e32 v18, v115, v18
	v_mul_f32_e32 v115, 0x3f763a35, v113
	v_add_f32_e32 v19, v117, v19
	v_fma_f32 v117, v15, s9, -v115
	v_fmac_f32_e32 v115, 0xbe8c1d8e, v15
	v_add_f32_e32 v20, v115, v20
	v_mul_f32_e32 v115, 0x3eb8f4ab, v113
	v_add_f32_e32 v21, v117, v21
	v_fma_f32 v117, v15, s14, -v115
	v_fmac_f32_e32 v115, 0x3f6eb680, v15
	v_add_f32_e32 v52, v115, v52
	v_mul_f32_e32 v115, 0xbf65296c, v113
	v_add_f32_e32 v53, v117, v53
	v_fma_f32 v117, v15, s7, -v115
	v_fmac_f32_e32 v115, 0x3ee437d1, v15
	v_add_f32_e32 v56, v115, v56
	v_mul_f32_e32 v115, 0xbf06c442, v113
	v_add_f32_e32 v57, v117, v57
	v_fma_f32 v117, v15, s16, -v115
	v_fmac_f32_e32 v115, 0xbf59a7d5, v15
	v_add_f32_e32 v58, v115, v58
	v_mul_f32_e32 v115, 0x3f4c4adb, v113
	v_add_f32_e32 v59, v117, v59
	v_fma_f32 v117, v15, s15, -v115
	v_fmac_f32_e32 v115, 0xbf1a4643, v15
	v_mul_f32_e32 v113, 0x3f2c7751, v113
	v_add_f32_e32 v103, v115, v103
	v_fma_f32 v115, v15, s8, -v113
	v_fmac_f32_e32 v113, 0x3f3d2fb0, v15
	v_add_f32_e32 v14, v113, v14
	v_sub_f32_e32 v113, v111, v112
	v_add_f32_e32 v107, v115, v107
	v_add_f32_e32 v15, v116, v106
	;; [unrolled: 42-line block ×5, first 2 shown]
	v_mul_f32_e32 v115, 0xbe3c28d5, v113
	v_add_f32_e32 v105, v117, v105
	v_fma_f32 v117, v15, s17, -v115
	v_fmac_f32_e32 v115, 0xbf7ba420, v15
	v_add_f32_e32 v16, v115, v16
	v_mul_f32_e32 v115, 0x3eb8f4ab, v113
	v_add_f32_e32 v17, v117, v17
	v_fma_f32 v117, v15, s14, -v115
	v_fmac_f32_e32 v115, 0x3f6eb680, v15
	v_add_f32_e32 v18, v115, v18
	;; [unrolled: 5-line block ×7, first 2 shown]
	v_mul_f32_e32 v103, 0x3f7ee86f, v113
	v_fma_f32 v113, v15, s6, -v103
	v_mul_f32_e32 v11, v143, v171
	v_mul_f32_e32 v73, v141, v171
	v_add_f32_e32 v107, v113, v107
	v_fmac_f32_e32 v103, 0x3dbcf732, v15
	v_sub_f32_e32 v113, v96, v99
	v_fma_f32 v68, v141, v170, -v11
	v_fmac_f32_e32 v73, v143, v170
	v_add_f32_e32 v105, v117, v105
	v_add_f32_e32 v14, v103, v14
	;; [unrolled: 1-line block ×3, first 2 shown]
	v_mul_f32_e32 v117, 0xbeb8f4ab, v113
	v_mul_f32_e32 v121, 0xbf2c7751, v113
	;; [unrolled: 1-line block ×8, first 2 shown]
	v_add_f32_e32 v11, v140, v131
	v_fma_f32 v119, v103, s14, -v117
	v_fmac_f32_e32 v117, 0x3f6eb680, v103
	v_fma_f32 v140, v103, s8, -v121
	v_fmac_f32_e32 v121, 0x3f3d2fb0, v103
	v_fma_f32 v142, v103, s7, -v141
	v_fmac_f32_e32 v141, 0x3ee437d1, v103
	v_fma_f32 v144, v103, s6, -v143
	v_fmac_f32_e32 v143, 0x3dbcf732, v103
	v_fma_f32 v146, v103, s9, -v145
	v_fmac_f32_e32 v145, 0xbe8c1d8e, v103
	v_fma_f32 v148, v103, s15, -v147
	v_fmac_f32_e32 v147, 0xbf1a4643, v103
	v_fma_f32 v150, v103, s16, -v149
	v_fmac_f32_e32 v149, 0xbf59a7d5, v103
	v_fma_f32 v151, v103, s17, -v113
	v_fmac_f32_e32 v113, 0xbf7ba420, v103
	v_add_f32_e32 v15, v12, v90
	v_add_f32_e32 v119, v12, v119
	;; [unrolled: 1-line block ×17, first 2 shown]
	v_sub_f32_e32 v113, v86, v89
	v_add_f32_e32 v103, v84, v85
	v_mul_f32_e32 v152, 0xbf2c7751, v113
	v_fma_f32 v153, v103, s8, -v152
	v_fmac_f32_e32 v152, 0x3f3d2fb0, v103
	v_add_f32_e32 v117, v152, v117
	v_mul_f32_e32 v152, 0xbf7ee86f, v113
	v_add_f32_e32 v119, v153, v119
	v_fma_f32 v153, v103, s6, -v152
	v_fmac_f32_e32 v152, 0x3dbcf732, v103
	v_add_f32_e32 v121, v152, v121
	v_mul_f32_e32 v152, 0xbf4c4adb, v113
	v_add_f32_e32 v140, v153, v140
	v_fma_f32 v153, v103, s15, -v152
	v_fmac_f32_e32 v152, 0xbf1a4643, v103
	v_add_f32_e32 v141, v152, v141
	v_mul_f32_e32 v152, 0xbe3c28d5, v113
	v_add_f32_e32 v142, v153, v142
	v_fma_f32 v153, v103, s17, -v152
	v_fmac_f32_e32 v152, 0xbf7ba420, v103
	v_add_f32_e32 v143, v152, v143
	v_mul_f32_e32 v152, 0x3f06c442, v113
	v_add_f32_e32 v144, v153, v144
	v_fma_f32 v153, v103, s16, -v152
	v_fmac_f32_e32 v152, 0xbf59a7d5, v103
	v_add_f32_e32 v145, v152, v145
	v_mul_f32_e32 v152, 0x3f763a35, v113
	v_add_f32_e32 v146, v153, v146
	v_fma_f32 v153, v103, s9, -v152
	v_fmac_f32_e32 v152, 0xbe8c1d8e, v103
	v_add_f32_e32 v147, v152, v147
	v_mul_f32_e32 v152, 0x3f65296c, v113
	v_add_f32_e32 v148, v153, v148
	v_fma_f32 v153, v103, s7, -v152
	v_fmac_f32_e32 v152, 0x3ee437d1, v103
	v_mul_f32_e32 v113, 0x3eb8f4ab, v113
	v_add_f32_e32 v149, v152, v149
	v_fma_f32 v152, v103, s14, -v113
	v_fmac_f32_e32 v113, 0x3f6eb680, v103
	v_add_f32_e32 v12, v113, v12
	v_sub_f32_e32 v113, v83, v75
	v_add_f32_e32 v151, v152, v151
	v_add_f32_e32 v103, v82, v32
	v_mul_f32_e32 v152, 0xbf65296c, v113
	v_add_f32_e32 v150, v153, v150
	v_fma_f32 v153, v103, s7, -v152
	v_fmac_f32_e32 v152, 0x3ee437d1, v103
	v_add_f32_e32 v117, v152, v117
	v_mul_f32_e32 v152, 0xbf4c4adb, v113
	v_add_f32_e32 v119, v153, v119
	v_fma_f32 v153, v103, s15, -v152
	v_fmac_f32_e32 v152, 0xbf1a4643, v103
	v_add_f32_e32 v121, v152, v121
	v_mul_f32_e32 v152, 0x3e3c28d5, v113
	v_add_f32_e32 v140, v153, v140
	v_fma_f32 v153, v103, s17, -v152
	v_fmac_f32_e32 v152, 0xbf7ba420, v103
	v_add_f32_e32 v141, v152, v141
	v_mul_f32_e32 v152, 0x3f763a35, v113
	v_add_f32_e32 v142, v153, v142
	v_fma_f32 v153, v103, s9, -v152
	v_fmac_f32_e32 v152, 0xbe8c1d8e, v103
	v_add_f32_e32 v143, v152, v143
	v_mul_f32_e32 v152, 0x3f2c7751, v113
	v_add_f32_e32 v144, v153, v144
	v_fma_f32 v153, v103, s8, -v152
	v_fmac_f32_e32 v152, 0x3f3d2fb0, v103
	v_add_f32_e32 v145, v152, v145
	v_mul_f32_e32 v152, 0xbeb8f4ab, v113
	v_add_f32_e32 v146, v153, v146
	v_fma_f32 v153, v103, s14, -v152
	v_fmac_f32_e32 v152, 0x3f6eb680, v103
	v_add_f32_e32 v147, v152, v147
	v_mul_f32_e32 v152, 0xbf7ee86f, v113
	v_add_f32_e32 v148, v153, v148
	v_fma_f32 v153, v103, s6, -v152
	v_fmac_f32_e32 v152, 0x3dbcf732, v103
	v_mul_f32_e32 v113, 0xbf06c442, v113
	v_add_f32_e32 v149, v152, v149
	v_fma_f32 v152, v103, s16, -v113
	v_fmac_f32_e32 v113, 0xbf59a7d5, v103
	v_add_f32_e32 v12, v113, v12
	v_sub_f32_e32 v113, v80, v79
	v_add_f32_e32 v151, v152, v151
	v_add_f32_e32 v103, v76, v34
	v_mul_f32_e32 v152, 0xbf7ee86f, v113
	v_add_f32_e32 v150, v153, v150
	;; [unrolled: 42-line block ×6, first 2 shown]
	v_fma_f32 v153, v103, s17, -v152
	v_fmac_f32_e32 v152, 0xbf7ba420, v103
	v_add_f32_e32 v117, v152, v117
	v_mul_f32_e32 v152, 0x3eb8f4ab, v113
	v_add_f32_e32 v11, v11, v129
	v_add_f32_e32 v119, v153, v119
	v_fma_f32 v153, v103, s14, -v152
	v_fmac_f32_e32 v152, 0x3f6eb680, v103
	v_add_f32_e32 v11, v11, v120
	v_add_f32_e32 v121, v152, v121
	v_mul_f32_e32 v152, 0xbf06c442, v113
	v_add_f32_e32 v11, v11, v118
	v_add_f32_e32 v15, v15, v84
	v_add_f32_e32 v140, v153, v140
	v_fma_f32 v153, v103, s16, -v152
	v_fmac_f32_e32 v152, 0xbf59a7d5, v103
	v_add_f32_e32 v11, v11, v116
	v_add_f32_e32 v15, v15, v82
	v_add_f32_e32 v141, v152, v141
	v_mul_f32_e32 v152, 0x3f2c7751, v113
	v_add_f32_e32 v11, v11, v110
	v_add_f32_e32 v15, v15, v76
	v_add_f32_e32 v142, v153, v142
	v_fma_f32 v153, v103, s8, -v152
	v_fmac_f32_e32 v152, 0x3f3d2fb0, v103
	v_add_f32_e32 v11, v11, v101
	;; [unrolled: 9-line block ×4, first 2 shown]
	v_add_f32_e32 v15, v15, v33
	v_add_f32_e32 v147, v152, v147
	v_mul_f32_e32 v152, 0xbf763a35, v113
	v_add_f32_e32 v11, v11, v106
	v_add_f32_e32 v15, v15, v40
	;; [unrolled: 1-line block ×3, first 2 shown]
	v_fma_f32 v153, v103, s9, -v152
	v_fmac_f32_e32 v152, 0xbe8c1d8e, v103
	v_mul_f32_e32 v113, 0x3f7ee86f, v113
	v_add_f32_e32 v11, v11, v108
	v_add_f32_e32 v15, v15, v38
	;; [unrolled: 1-line block ×3, first 2 shown]
	v_fma_f32 v152, v103, s6, -v113
	v_fmac_f32_e32 v113, 0x3dbcf732, v103
	v_add_f32_e32 v11, v11, v114
	v_add_f32_e32 v15, v15, v36
	;; [unrolled: 1-line block ×3, first 2 shown]
	v_mov_b32_e32 v12, 2
	v_add_f32_e32 v11, v11, v132
	v_add_f32_e32 v15, v15, v34
	v_mad_u32_u24 v103, v136, s4, 0
	v_lshlrev_b32_sdwa v136, v12, v137 dst_sel:DWORD dst_unused:UNUSED_PAD src0_sel:DWORD src1_sel:BYTE_0
	v_add_f32_e32 v11, v11, v134
	v_add_f32_e32 v15, v15, v32
	v_add3_u32 v103, v103, v136, v124
	v_add_f32_e32 v15, v15, v85
	s_waitcnt lgkmcnt(0)
	; wave barrier
	ds_write2_b32 v103, v11, v17 offset1:7
	ds_write2_b32 v103, v19, v21 offset0:14 offset1:21
	ds_write2_b32 v103, v53, v57 offset0:28 offset1:35
	;; [unrolled: 1-line block ×7, first 2 shown]
	ds_write_b32 v103, v16 offset:448
	v_mad_u32_u24 v11, v138, s4, 0
	v_lshlrev_b32_sdwa v14, v12, v139 dst_sel:DWORD dst_unused:UNUSED_PAD src0_sel:DWORD src1_sel:BYTE_0
	v_add_f32_e32 v15, v15, v95
	v_add3_u32 v105, v11, v14, v124
	v_add_f32_e32 v150, v153, v150
	v_add_f32_e32 v151, v152, v151
	ds_write2_b32 v105, v15, v119 offset1:7
	ds_write2_b32 v105, v140, v142 offset0:14 offset1:21
	ds_write2_b32 v105, v144, v146 offset0:28 offset1:35
	;; [unrolled: 1-line block ×7, first 2 shown]
	ds_write_b32 v105, v117 offset:448
	s_and_saveexec_b64 s[4:5], s[0:1]
	s_cbranch_execz .LBB0_18
; %bb.17:
	v_sub_f32_e32 v14, v72, v73
	v_mul_f32_e32 v15, 0xbe3c28d5, v14
	v_sub_f32_e32 v18, v70, v66
	v_add_f32_e32 v11, v71, v68
	v_mov_b32_e32 v16, v15
	v_mul_f32_e32 v19, 0x3eb8f4ab, v18
	v_fmac_f32_e32 v16, 0xbf7ba420, v11
	v_add_f32_e32 v17, v69, v65
	v_mov_b32_e32 v20, v19
	v_sub_f32_e32 v21, v67, v62
	v_add_f32_e32 v16, v10, v16
	v_fmac_f32_e32 v20, 0x3f6eb680, v17
	v_mul_f32_e32 v52, 0xbf06c442, v21
	v_add_f32_e32 v16, v20, v16
	v_add_f32_e32 v20, v64, v61
	v_mov_b32_e32 v53, v52
	v_sub_f32_e32 v56, v63, v60
	v_fmac_f32_e32 v53, 0xbf59a7d5, v20
	v_mul_f32_e32 v57, 0x3f2c7751, v56
	v_add_f32_e32 v16, v53, v16
	v_add_f32_e32 v53, v54, v55
	v_mov_b32_e32 v58, v57
	v_sub_f32_e32 v59, v45, v47
	;; [unrolled: 6-line block ×3, first 2 shown]
	v_fma_f32 v15, v11, s17, -v15
	v_fmac_f32_e32 v113, 0xbf1a4643, v58
	v_mul_f32_e32 v117, 0x3f65296c, v115
	v_add_f32_e32 v15, v10, v15
	v_fma_f32 v19, v17, s14, -v19
	v_add_f32_e32 v16, v113, v16
	v_add_f32_e32 v113, v29, v31
	v_mov_b32_e32 v119, v117
	v_sub_f32_e32 v121, v26, v28
	v_add_f32_e32 v15, v19, v15
	v_fma_f32 v19, v20, s16, -v52
	v_fmac_f32_e32 v119, 0x3ee437d1, v113
	v_mul_f32_e32 v136, 0xbf763a35, v121
	v_add_f32_e32 v15, v19, v15
	v_fma_f32 v19, v53, s8, -v57
	v_add_f32_e32 v16, v119, v16
	v_add_f32_e32 v119, v25, v27
	v_mov_b32_e32 v137, v136
	v_add_f32_e32 v15, v19, v15
	v_fma_f32 v19, v58, s15, -v107
	v_fmac_f32_e32 v137, 0xbe8c1d8e, v119
	v_sub_f32_e32 v138, v22, v24
	v_add_f32_e32 v15, v19, v15
	v_fma_f32 v19, v113, s7, -v117
	v_add_f32_e32 v16, v137, v16
	v_add_f32_e32 v137, v7, v23
	v_mul_f32_e32 v139, 0x3f7ee86f, v138
	v_add_f32_e32 v15, v19, v15
	v_fma_f32 v19, v119, s9, -v136
	v_add_f32_e32 v15, v19, v15
	v_fma_f32 v19, v137, s6, -v139
	v_add_f32_e32 v15, v19, v15
	v_mul_f32_e32 v19, 0xbf06c442, v14
	v_mov_b32_e32 v52, v19
	v_mul_f32_e32 v57, 0x3f65296c, v18
	v_fmac_f32_e32 v52, 0xbf59a7d5, v11
	v_mov_b32_e32 v107, v57
	v_add_f32_e32 v52, v10, v52
	v_fmac_f32_e32 v107, 0x3ee437d1, v17
	v_add_f32_e32 v52, v107, v52
	v_mul_f32_e32 v107, 0xbf7ee86f, v21
	v_mov_b32_e32 v117, v107
	v_fmac_f32_e32 v117, 0x3dbcf732, v20
	v_add_f32_e32 v52, v117, v52
	v_mul_f32_e32 v117, 0x3f4c4adb, v56
	v_mov_b32_e32 v136, v117
	v_fmac_f32_e32 v136, 0xbf1a4643, v53
	v_add_f32_e32 v52, v136, v52
	v_mul_f32_e32 v136, 0xbeb8f4ab, v59
	v_mov_b32_e32 v140, v139
	v_mov_b32_e32 v139, v136
	v_fmac_f32_e32 v139, 0x3f6eb680, v58
	v_fmac_f32_e32 v140, 0x3dbcf732, v137
	v_add_f32_e32 v52, v139, v52
	v_mul_f32_e32 v139, 0xbe3c28d5, v115
	v_fma_f32 v19, v11, s16, -v19
	v_add_f32_e32 v16, v140, v16
	v_mov_b32_e32 v140, v139
	v_add_f32_e32 v19, v10, v19
	v_fma_f32 v57, v17, s7, -v57
	v_fmac_f32_e32 v140, 0xbf7ba420, v113
	v_add_f32_e32 v19, v57, v19
	v_fma_f32 v57, v20, s6, -v107
	v_add_f32_e32 v52, v140, v52
	v_mul_f32_e32 v140, 0x3f2c7751, v121
	v_add_f32_e32 v19, v57, v19
	v_fma_f32 v57, v53, s15, -v117
	v_mov_b32_e32 v141, v140
	v_add_f32_e32 v19, v57, v19
	v_fma_f32 v57, v58, s14, -v136
	v_fmac_f32_e32 v141, 0x3f3d2fb0, v119
	v_add_f32_e32 v19, v57, v19
	v_fma_f32 v57, v113, s17, -v139
	v_add_f32_e32 v52, v141, v52
	v_mul_f32_e32 v141, 0xbf763a35, v138
	v_add_f32_e32 v19, v57, v19
	v_fma_f32 v57, v119, s8, -v140
	v_add_f32_e32 v19, v57, v19
	v_fma_f32 v57, v137, s9, -v141
	v_add_f32_e32 v19, v57, v19
	v_mul_f32_e32 v57, 0xbf4c4adb, v14
	v_mov_b32_e32 v107, v57
	v_mul_f32_e32 v117, 0x3f763a35, v18
	v_fmac_f32_e32 v107, 0xbf1a4643, v11
	v_mov_b32_e32 v136, v117
	v_add_f32_e32 v107, v10, v107
	v_fmac_f32_e32 v136, 0xbe8c1d8e, v17
	v_add_f32_e32 v107, v136, v107
	v_mul_f32_e32 v136, 0xbeb8f4ab, v21
	v_mov_b32_e32 v139, v136
	v_fmac_f32_e32 v139, 0x3f6eb680, v20
	v_add_f32_e32 v107, v139, v107
	v_mul_f32_e32 v139, 0xbf06c442, v56
	v_mov_b32_e32 v140, v139
	v_fmac_f32_e32 v140, 0xbf59a7d5, v53
	v_add_f32_e32 v107, v140, v107
	v_mul_f32_e32 v140, 0x3f7ee86f, v59
	v_mov_b32_e32 v142, v141
	v_mov_b32_e32 v141, v140
	v_fmac_f32_e32 v141, 0x3dbcf732, v58
	v_fmac_f32_e32 v142, 0xbe8c1d8e, v137
	v_add_f32_e32 v107, v141, v107
	v_mul_f32_e32 v141, 0xbf2c7751, v115
	v_fma_f32 v57, v11, s15, -v57
	v_add_f32_e32 v52, v142, v52
	v_mov_b32_e32 v142, v141
	v_add_f32_e32 v57, v10, v57
	v_fma_f32 v117, v17, s9, -v117
	v_fmac_f32_e32 v142, 0x3f3d2fb0, v113
	v_add_f32_e32 v57, v117, v57
	v_fma_f32 v117, v20, s14, -v136
	v_add_f32_e32 v107, v142, v107
	v_mul_f32_e32 v142, 0xbe3c28d5, v121
	v_add_f32_e32 v57, v117, v57
	v_fma_f32 v117, v53, s16, -v139
	v_mov_b32_e32 v143, v142
	v_add_f32_e32 v57, v117, v57
	v_fma_f32 v117, v58, s6, -v140
	v_fmac_f32_e32 v143, 0xbf7ba420, v119
	v_add_f32_e32 v57, v117, v57
	v_fma_f32 v117, v113, s8, -v141
	;; [unrolled: 48-line block ×6, first 2 shown]
	v_add_f32_e32 v144, v151, v144
	v_mul_f32_e32 v151, 0x3eb8f4ab, v138
	v_add_f32_e32 v143, v145, v143
	v_fma_f32 v145, v119, s7, -v150
	v_add_f32_e32 v143, v145, v143
	v_fma_f32 v145, v137, s14, -v151
	v_mul_f32_e32 v14, 0xbeb8f4ab, v14
	v_add_f32_e32 v143, v145, v143
	v_mov_b32_e32 v145, v14
	v_fmac_f32_e32 v145, 0x3f6eb680, v11
	v_fma_f32 v11, v11, s14, -v14
	v_add_f32_e32 v145, v10, v145
	v_add_f32_e32 v11, v10, v11
	v_add_f32_e32 v10, v10, v71
	v_add_f32_e32 v10, v10, v69
	v_mul_f32_e32 v18, 0xbf2c7751, v18
	v_add_f32_e32 v10, v10, v64
	v_mov_b32_e32 v146, v18
	v_add_f32_e32 v10, v10, v54
	v_fmac_f32_e32 v146, 0x3f3d2fb0, v17
	v_mul_f32_e32 v21, 0xbf65296c, v21
	v_add_f32_e32 v10, v10, v44
	v_add_f32_e32 v145, v146, v145
	v_mov_b32_e32 v146, v21
	v_add_f32_e32 v10, v10, v29
	v_fmac_f32_e32 v146, 0x3ee437d1, v20
	v_mul_f32_e32 v56, 0xbf7ee86f, v56
	v_add_f32_e32 v10, v10, v25
	v_add_f32_e32 v145, v146, v145
	v_mov_b32_e32 v146, v56
	v_add_f32_e32 v10, v10, v7
	v_fmac_f32_e32 v146, 0x3dbcf732, v53
	v_mul_f32_e32 v59, 0xbf763a35, v59
	v_fma_f32 v14, v17, s8, -v18
	v_add_f32_e32 v10, v10, v23
	v_add_f32_e32 v145, v146, v145
	v_mov_b32_e32 v146, v59
	v_add_f32_e32 v11, v14, v11
	v_fma_f32 v14, v20, s7, -v21
	v_add_f32_e32 v10, v10, v27
	v_fmac_f32_e32 v146, 0xbe8c1d8e, v58
	v_mul_f32_e32 v115, 0xbf4c4adb, v115
	v_add_f32_e32 v11, v14, v11
	v_fma_f32 v14, v53, s6, -v56
	v_add_f32_e32 v10, v10, v31
	v_add_f32_e32 v145, v146, v145
	v_mov_b32_e32 v146, v115
	v_add_f32_e32 v11, v14, v11
	v_fma_f32 v14, v58, s9, -v59
	v_add_f32_e32 v10, v10, v46
	v_fmac_f32_e32 v146, 0xbf1a4643, v113
	v_mul_f32_e32 v121, 0xbf06c442, v121
	v_add_f32_e32 v11, v14, v11
	v_fma_f32 v14, v113, s15, -v115
	v_add_f32_e32 v10, v10, v55
	v_add_f32_e32 v145, v146, v145
	v_mov_b32_e32 v146, v121
	v_mul_f32_e32 v138, 0xbe3c28d5, v138
	v_add_f32_e32 v11, v14, v11
	v_fma_f32 v14, v119, s16, -v121
	v_add_f32_e32 v10, v10, v61
	v_lshlrev_b32_sdwa v12, v12, v43 dst_sel:DWORD dst_unused:UNUSED_PAD src0_sel:DWORD src1_sel:BYTE_0
	v_fmac_f32_e32 v146, 0xbf59a7d5, v119
	v_add_f32_e32 v11, v14, v11
	v_fma_f32 v14, v137, s17, -v138
	v_add_f32_e32 v10, v10, v65
	v_add3_u32 v12, 0, v12, v124
	v_mov_b32_e32 v152, v151
	v_add_f32_e32 v145, v146, v145
	v_mov_b32_e32 v146, v138
	v_add_f32_e32 v11, v14, v11
	v_add_f32_e32 v10, v10, v68
	v_add_u32_e32 v14, 0x400, v12
	v_fmac_f32_e32 v152, 0x3f6eb680, v137
	v_fmac_f32_e32 v146, 0xbf7ba420, v137
	ds_write2_b32 v14, v10, v11 offset0:220 offset1:227
	ds_write2_b32 v14, v143, v141 offset0:234 offset1:241
	;; [unrolled: 1-line block ×3, first 2 shown]
	v_add_u32_e32 v10, 0x800, v12
	v_add_f32_e32 v144, v152, v144
	v_add_f32_e32 v145, v146, v145
	ds_write2_b32 v10, v57, v19 offset0:6 offset1:13
	ds_write2_b32 v10, v15, v16 offset0:20 offset1:27
	;; [unrolled: 1-line block ×5, first 2 shown]
	ds_write_b32 v12, v145 offset:2352
.LBB0_18:
	s_or_b64 exec, exec, s[4:5]
	v_add_f32_e32 v10, v94, v130
	v_add_f32_e32 v10, v10, v128
	;; [unrolled: 1-line block ×14, first 2 shown]
	v_sub_f32_e32 v11, v131, v134
	v_add_f32_e32 v10, v10, v133
	v_mul_f32_e32 v12, 0xbeb8f4ab, v11
	v_mul_f32_e32 v15, 0xbf2c7751, v11
	;; [unrolled: 1-line block ×8, first 2 shown]
	v_add_f32_e32 v107, v10, v135
	v_add_f32_e32 v10, v130, v135
	v_mov_b32_e32 v14, v12
	v_mov_b32_e32 v16, v15
	;; [unrolled: 1-line block ×8, first 2 shown]
	v_fmac_f32_e32 v14, 0x3f6eb680, v10
	v_fma_f32 v12, v10, s14, -v12
	v_fmac_f32_e32 v16, 0x3f3d2fb0, v10
	v_fma_f32 v15, v10, s8, -v15
	;; [unrolled: 2-line block ×8, first 2 shown]
	v_add_f32_e32 v14, v94, v14
	v_add_f32_e32 v12, v94, v12
	;; [unrolled: 1-line block ×16, first 2 shown]
	v_sub_f32_e32 v94, v129, v132
	v_add_f32_e32 v11, v128, v133
	v_mul_f32_e32 v113, 0xbf2c7751, v94
	v_mov_b32_e32 v115, v113
	v_fma_f32 v113, v11, s8, -v113
	v_fmac_f32_e32 v115, 0x3f3d2fb0, v11
	v_add_f32_e32 v12, v113, v12
	v_mul_f32_e32 v113, 0xbf7ee86f, v94
	v_add_f32_e32 v14, v115, v14
	v_mov_b32_e32 v115, v113
	v_fma_f32 v113, v11, s6, -v113
	v_fmac_f32_e32 v115, 0x3dbcf732, v11
	v_add_f32_e32 v15, v113, v15
	v_mul_f32_e32 v113, 0xbf4c4adb, v94
	v_add_f32_e32 v16, v115, v16
	;; [unrolled: 6-line block ×6, first 2 shown]
	v_mov_b32_e32 v115, v113
	v_fma_f32 v113, v11, s7, -v113
	v_mul_f32_e32 v94, 0x3eb8f4ab, v94
	v_add_f32_e32 v57, v113, v57
	v_mov_b32_e32 v113, v94
	v_fmac_f32_e32 v115, 0x3ee437d1, v11
	v_fmac_f32_e32 v113, 0x3f6eb680, v11
	v_fma_f32 v11, v11, s14, -v94
	v_sub_f32_e32 v94, v120, v114
	v_add_f32_e32 v59, v113, v59
	v_add_f32_e32 v10, v11, v10
	;; [unrolled: 1-line block ×3, first 2 shown]
	v_mul_f32_e32 v113, 0xbf65296c, v94
	v_mov_b32_e32 v114, v113
	v_fma_f32 v113, v11, s7, -v113
	v_fmac_f32_e32 v114, 0x3ee437d1, v11
	v_add_f32_e32 v12, v113, v12
	v_mul_f32_e32 v113, 0xbf4c4adb, v94
	v_add_f32_e32 v14, v114, v14
	v_mov_b32_e32 v114, v113
	v_fma_f32 v113, v11, s15, -v113
	v_fmac_f32_e32 v114, 0xbf1a4643, v11
	v_add_f32_e32 v15, v113, v15
	v_mul_f32_e32 v113, 0x3e3c28d5, v94
	v_add_f32_e32 v16, v114, v16
	;; [unrolled: 6-line block ×6, first 2 shown]
	v_mov_b32_e32 v114, v113
	v_fma_f32 v113, v11, s6, -v113
	v_mul_f32_e32 v94, 0xbf06c442, v94
	v_add_f32_e32 v57, v113, v57
	v_mov_b32_e32 v113, v94
	v_fmac_f32_e32 v114, 0x3dbcf732, v11
	v_fmac_f32_e32 v113, 0xbf59a7d5, v11
	v_fma_f32 v11, v11, s16, -v94
	v_sub_f32_e32 v94, v118, v108
	v_add_f32_e32 v10, v11, v10
	v_add_f32_e32 v11, v125, v126
	v_mul_f32_e32 v108, 0xbf7ee86f, v94
	v_add_f32_e32 v59, v113, v59
	v_mov_b32_e32 v113, v108
	v_fma_f32 v108, v11, s6, -v108
	v_fmac_f32_e32 v113, 0x3dbcf732, v11
	v_add_f32_e32 v12, v108, v12
	v_mul_f32_e32 v108, 0xbe3c28d5, v94
	v_add_f32_e32 v14, v113, v14
	v_mov_b32_e32 v113, v108
	v_fma_f32 v108, v11, s17, -v108
	v_fmac_f32_e32 v113, 0xbf7ba420, v11
	v_add_f32_e32 v15, v108, v15
	v_mul_f32_e32 v108, 0x3f763a35, v94
	v_add_f32_e32 v16, v113, v16
	v_mov_b32_e32 v113, v108
	v_fma_f32 v108, v11, s9, -v108
	v_fmac_f32_e32 v113, 0xbe8c1d8e, v11
	v_add_f32_e32 v17, v108, v17
	v_mul_f32_e32 v108, 0x3eb8f4ab, v94
	v_add_f32_e32 v18, v113, v18
	v_mov_b32_e32 v113, v108
	v_fma_f32 v108, v11, s14, -v108
	v_fmac_f32_e32 v113, 0x3f6eb680, v11
	v_add_f32_e32 v19, v108, v19
	v_mul_f32_e32 v108, 0xbf65296c, v94
	v_add_f32_e32 v20, v113, v20
	v_mov_b32_e32 v113, v108
	v_fma_f32 v108, v11, s7, -v108
	v_fmac_f32_e32 v113, 0x3ee437d1, v11
	v_add_f32_e32 v21, v108, v21
	v_mul_f32_e32 v108, 0xbf06c442, v94
	v_add_f32_e32 v52, v113, v52
	v_mov_b32_e32 v113, v108
	v_fma_f32 v108, v11, s16, -v108
	v_fmac_f32_e32 v113, 0xbf59a7d5, v11
	v_add_f32_e32 v53, v108, v53
	v_mul_f32_e32 v108, 0x3f4c4adb, v94
	v_add_f32_e32 v56, v113, v56
	v_mov_b32_e32 v113, v108
	v_fma_f32 v108, v11, s15, -v108
	v_mul_f32_e32 v94, 0x3f2c7751, v94
	v_add_f32_e32 v57, v108, v57
	v_mov_b32_e32 v108, v94
	v_fmac_f32_e32 v113, 0xbf1a4643, v11
	v_fmac_f32_e32 v108, 0x3f3d2fb0, v11
	v_fma_f32 v11, v11, s8, -v94
	v_sub_f32_e32 v94, v116, v106
	v_add_f32_e32 v10, v11, v10
	v_add_f32_e32 v11, v111, v112
	v_mul_f32_e32 v106, 0xbf763a35, v94
	v_add_f32_e32 v59, v108, v59
	v_mov_b32_e32 v108, v106
	v_fma_f32 v106, v11, s9, -v106
	v_fmac_f32_e32 v108, 0xbe8c1d8e, v11
	v_add_f32_e32 v12, v106, v12
	v_mul_f32_e32 v106, 0x3f06c442, v94
	v_add_f32_e32 v14, v108, v14
	v_mov_b32_e32 v108, v106
	v_fma_f32 v106, v11, s16, -v106
	v_fmac_f32_e32 v108, 0xbf59a7d5, v11
	;; [unrolled: 6-line block ×6, first 2 shown]
	v_add_f32_e32 v53, v106, v53
	v_mul_f32_e32 v106, 0xbeb8f4ab, v94
	v_add_f32_e32 v56, v108, v56
	v_mov_b32_e32 v108, v106
	v_fma_f32 v106, v11, s14, -v106
	v_mul_f32_e32 v94, 0xbf4c4adb, v94
	v_add_f32_e32 v57, v106, v57
	v_mov_b32_e32 v106, v94
	v_fmac_f32_e32 v108, 0x3f6eb680, v11
	v_fmac_f32_e32 v106, 0xbf1a4643, v11
	v_fma_f32 v11, v11, s15, -v94
	v_sub_f32_e32 v94, v110, v104
	v_add_f32_e32 v10, v11, v10
	v_add_f32_e32 v11, v102, v109
	v_mul_f32_e32 v102, 0xbf4c4adb, v94
	v_mov_b32_e32 v104, v102
	v_fma_f32 v102, v11, s15, -v102
	v_fmac_f32_e32 v104, 0xbf1a4643, v11
	v_add_f32_e32 v12, v102, v12
	v_mul_f32_e32 v102, 0x3f763a35, v94
	v_add_f32_e32 v14, v104, v14
	v_mov_b32_e32 v104, v102
	v_fma_f32 v102, v11, s9, -v102
	v_fmac_f32_e32 v104, 0xbe8c1d8e, v11
	v_add_f32_e32 v15, v102, v15
	v_mul_f32_e32 v102, 0xbeb8f4ab, v94
	v_add_f32_e32 v16, v104, v16
	;; [unrolled: 6-line block ×6, first 2 shown]
	v_mov_b32_e32 v104, v102
	v_fma_f32 v102, v11, s17, -v102
	v_mul_f32_e32 v94, 0x3f65296c, v94
	v_add_f32_e32 v57, v102, v57
	v_mov_b32_e32 v102, v94
	v_fmac_f32_e32 v104, 0xbf7ba420, v11
	v_fmac_f32_e32 v102, 0x3ee437d1, v11
	v_fma_f32 v11, v11, s7, -v94
	v_sub_f32_e32 v94, v101, v100
	v_add_f32_e32 v10, v11, v10
	v_add_f32_e32 v11, v97, v98
	v_mul_f32_e32 v97, 0xbf06c442, v94
	v_mov_b32_e32 v98, v97
	v_fma_f32 v97, v11, s16, -v97
	v_fmac_f32_e32 v98, 0xbf59a7d5, v11
	v_add_f32_e32 v12, v97, v12
	v_mul_f32_e32 v97, 0x3f65296c, v94
	v_add_f32_e32 v14, v98, v14
	v_mov_b32_e32 v98, v97
	v_fma_f32 v97, v11, s7, -v97
	v_fmac_f32_e32 v98, 0x3ee437d1, v11
	v_add_f32_e32 v15, v97, v15
	v_mul_f32_e32 v97, 0xbf7ee86f, v94
	v_add_f32_e32 v16, v98, v16
	v_mov_b32_e32 v98, v97
	v_fma_f32 v97, v11, s6, -v97
	v_fmac_f32_e32 v98, 0x3dbcf732, v11
	v_add_f32_e32 v17, v97, v17
	v_mul_f32_e32 v97, 0x3f4c4adb, v94
	v_add_f32_e32 v18, v98, v18
	v_mov_b32_e32 v98, v97
	v_fma_f32 v97, v11, s15, -v97
	v_fmac_f32_e32 v98, 0xbf1a4643, v11
	v_add_f32_e32 v19, v97, v19
	v_mul_f32_e32 v97, 0xbeb8f4ab, v94
	v_add_f32_e32 v20, v98, v20
	v_mov_b32_e32 v98, v97
	v_fma_f32 v97, v11, s14, -v97
	v_fmac_f32_e32 v98, 0x3f6eb680, v11
	v_add_f32_e32 v21, v97, v21
	v_mul_f32_e32 v97, 0xbe3c28d5, v94
	v_add_f32_e32 v52, v98, v52
	v_mov_b32_e32 v98, v97
	v_fma_f32 v97, v11, s17, -v97
	v_fmac_f32_e32 v98, 0xbf7ba420, v11
	v_add_f32_e32 v53, v97, v53
	v_mul_f32_e32 v97, 0x3f2c7751, v94
	v_add_f32_e32 v56, v98, v56
	v_mov_b32_e32 v98, v97
	v_fma_f32 v97, v11, s8, -v97
	v_mul_f32_e32 v94, 0xbf763a35, v94
	v_add_f32_e32 v57, v97, v57
	v_mov_b32_e32 v97, v94
	v_fmac_f32_e32 v98, 0x3f3d2fb0, v11
	v_fmac_f32_e32 v97, 0xbe8c1d8e, v11
	v_fma_f32 v11, v11, s9, -v94
	v_add_f32_e32 v10, v11, v10
	v_add_f32_e32 v11, v87, v88
	v_sub_f32_e32 v87, v91, v92
	v_mul_f32_e32 v88, 0xbe3c28d5, v87
	v_mov_b32_e32 v91, v88
	v_fmac_f32_e32 v91, 0xbf7ba420, v11
	v_add_f32_e32 v58, v115, v58
	v_add_f32_e32 v91, v91, v14
	v_fma_f32 v14, v11, s17, -v88
	v_add_f32_e32 v58, v114, v58
	v_add_f32_e32 v88, v14, v12
	v_mul_f32_e32 v12, 0x3eb8f4ab, v87
	v_add_f32_e32 v58, v113, v58
	v_mov_b32_e32 v14, v12
	v_fma_f32 v12, v11, s14, -v12
	v_add_f32_e32 v58, v108, v58
	v_fmac_f32_e32 v14, 0x3f6eb680, v11
	v_add_f32_e32 v94, v12, v15
	v_mul_f32_e32 v12, 0xbf06c442, v87
	v_add_f32_e32 v59, v106, v59
	v_add_f32_e32 v58, v104, v58
	;; [unrolled: 1-line block ×3, first 2 shown]
	v_mov_b32_e32 v14, v12
	v_fma_f32 v12, v11, s16, -v12
	v_add_f32_e32 v59, v102, v59
	v_add_f32_e32 v58, v98, v58
	v_fmac_f32_e32 v14, 0xbf59a7d5, v11
	v_add_f32_e32 v98, v12, v17
	v_mul_f32_e32 v12, 0x3f2c7751, v87
	v_add_f32_e32 v59, v97, v59
	v_add_f32_e32 v97, v14, v18
	v_mov_b32_e32 v14, v12
	v_fma_f32 v12, v11, s8, -v12
	v_fmac_f32_e32 v14, 0x3f3d2fb0, v11
	v_add_f32_e32 v101, v12, v19
	v_mul_f32_e32 v12, 0xbf4c4adb, v87
	v_add_f32_e32 v100, v14, v20
	v_mov_b32_e32 v14, v12
	v_fma_f32 v12, v11, s15, -v12
	v_fmac_f32_e32 v14, 0xbf1a4643, v11
	v_add_f32_e32 v104, v12, v21
	v_mul_f32_e32 v12, 0x3f65296c, v87
	v_add_f32_e32 v102, v14, v52
	v_mov_b32_e32 v14, v12
	v_fma_f32 v12, v11, s7, -v12
	v_fmac_f32_e32 v14, 0x3ee437d1, v11
	v_add_f32_e32 v108, v12, v53
	v_mul_f32_e32 v12, 0xbf763a35, v87
	v_add_f32_e32 v106, v14, v56
	v_mov_b32_e32 v14, v12
	v_fma_f32 v12, v11, s9, -v12
	v_fmac_f32_e32 v14, 0xbe8c1d8e, v11
	v_add_f32_e32 v110, v12, v57
	v_mul_f32_e32 v12, 0x3f7ee86f, v87
	v_add_f32_e32 v109, v14, v58
	v_mov_b32_e32 v14, v12
	v_fmac_f32_e32 v14, 0x3dbcf732, v11
	v_fma_f32 v11, v11, s6, -v12
	v_add_f32_e32 v111, v11, v10
	v_add_f32_e32 v10, v8, v96
	;; [unrolled: 1-line block ×15, first 2 shown]
	v_sub_f32_e32 v11, v90, v95
	v_add_f32_e32 v10, v10, v89
	v_mul_f32_e32 v12, 0xbeb8f4ab, v11
	v_mul_f32_e32 v15, 0xbf2c7751, v11
	;; [unrolled: 1-line block ×8, first 2 shown]
	v_add_f32_e32 v87, v14, v59
	v_add_f32_e32 v112, v10, v99
	;; [unrolled: 1-line block ×3, first 2 shown]
	v_mov_b32_e32 v14, v12
	v_mov_b32_e32 v16, v15
	;; [unrolled: 1-line block ×8, first 2 shown]
	v_fmac_f32_e32 v14, 0x3f6eb680, v10
	v_fma_f32 v12, v10, s14, -v12
	v_fmac_f32_e32 v16, 0x3f3d2fb0, v10
	v_fma_f32 v15, v10, s8, -v15
	;; [unrolled: 2-line block ×8, first 2 shown]
	v_sub_f32_e32 v11, v84, v85
	v_add_f32_e32 v14, v8, v14
	v_add_f32_e32 v12, v8, v12
	;; [unrolled: 1-line block ×17, first 2 shown]
	v_mul_f32_e32 v84, 0xbf2c7751, v11
	v_mov_b32_e32 v85, v84
	v_fma_f32 v84, v10, s8, -v84
	v_fmac_f32_e32 v85, 0x3f3d2fb0, v10
	v_add_f32_e32 v12, v84, v12
	v_mul_f32_e32 v84, 0xbf7ee86f, v11
	v_add_f32_e32 v14, v85, v14
	v_mov_b32_e32 v85, v84
	v_fma_f32 v84, v10, s6, -v84
	v_fmac_f32_e32 v85, 0x3dbcf732, v10
	v_add_f32_e32 v15, v84, v15
	v_mul_f32_e32 v84, 0xbf4c4adb, v11
	v_add_f32_e32 v16, v85, v16
	;; [unrolled: 6-line block ×6, first 2 shown]
	v_mov_b32_e32 v85, v84
	v_fma_f32 v84, v10, s7, -v84
	v_mul_f32_e32 v11, 0x3eb8f4ab, v11
	v_add_f32_e32 v57, v84, v57
	v_mov_b32_e32 v84, v11
	v_fmac_f32_e32 v85, 0x3ee437d1, v10
	v_fmac_f32_e32 v84, 0x3f6eb680, v10
	v_fma_f32 v10, v10, s14, -v11
	v_sub_f32_e32 v11, v82, v32
	v_add_f32_e32 v8, v10, v8
	v_add_f32_e32 v10, v83, v75
	v_mul_f32_e32 v32, 0xbf65296c, v11
	v_mov_b32_e32 v75, v32
	v_fma_f32 v32, v10, s7, -v32
	v_fmac_f32_e32 v75, 0x3ee437d1, v10
	v_add_f32_e32 v12, v32, v12
	v_mul_f32_e32 v32, 0xbf4c4adb, v11
	v_add_f32_e32 v14, v75, v14
	v_mov_b32_e32 v75, v32
	v_fma_f32 v32, v10, s15, -v32
	v_fmac_f32_e32 v75, 0xbf1a4643, v10
	v_add_f32_e32 v15, v32, v15
	v_mul_f32_e32 v32, 0x3e3c28d5, v11
	v_add_f32_e32 v16, v75, v16
	;; [unrolled: 6-line block ×6, first 2 shown]
	v_mov_b32_e32 v75, v53
	v_fma_f32 v53, v10, s6, -v53
	v_mul_f32_e32 v11, 0xbf06c442, v11
	v_add_f32_e32 v53, v53, v57
	v_mov_b32_e32 v57, v11
	v_fmac_f32_e32 v75, 0x3dbcf732, v10
	v_fmac_f32_e32 v57, 0xbf59a7d5, v10
	v_fma_f32 v10, v10, s16, -v11
	v_sub_f32_e32 v11, v76, v34
	v_add_f32_e32 v59, v84, v59
	v_add_f32_e32 v8, v10, v8
	;; [unrolled: 1-line block ×3, first 2 shown]
	v_mul_f32_e32 v34, 0xbf7ee86f, v11
	v_add_f32_e32 v57, v57, v59
	v_mov_b32_e32 v59, v34
	v_fma_f32 v34, v10, s6, -v34
	v_fmac_f32_e32 v59, 0x3dbcf732, v10
	v_add_f32_e32 v12, v34, v12
	v_mul_f32_e32 v34, 0xbe3c28d5, v11
	v_add_f32_e32 v14, v59, v14
	v_mov_b32_e32 v59, v34
	v_fma_f32 v34, v10, s17, -v34
	v_fmac_f32_e32 v59, 0xbf7ba420, v10
	v_add_f32_e32 v15, v34, v15
	;; [unrolled: 6-line block ×6, first 2 shown]
	v_mul_f32_e32 v34, 0x3f4c4adb, v11
	v_add_f32_e32 v56, v59, v56
	v_mov_b32_e32 v59, v34
	v_fma_f32 v34, v10, s15, -v34
	v_mul_f32_e32 v11, 0x3f2c7751, v11
	v_add_f32_e32 v34, v34, v53
	v_mov_b32_e32 v53, v11
	v_fmac_f32_e32 v59, 0xbf1a4643, v10
	v_fmac_f32_e32 v53, 0x3f3d2fb0, v10
	v_fma_f32 v10, v10, s8, -v11
	v_sub_f32_e32 v11, v49, v36
	v_add_f32_e32 v8, v10, v8
	v_add_f32_e32 v10, v51, v81
	v_mul_f32_e32 v36, 0xbf763a35, v11
	v_mov_b32_e32 v49, v36
	v_fma_f32 v36, v10, s9, -v36
	v_fmac_f32_e32 v49, 0xbe8c1d8e, v10
	v_add_f32_e32 v12, v36, v12
	v_mul_f32_e32 v36, 0x3f06c442, v11
	v_add_f32_e32 v14, v49, v14
	v_mov_b32_e32 v49, v36
	v_fma_f32 v36, v10, s16, -v36
	v_fmac_f32_e32 v49, 0xbf59a7d5, v10
	v_add_f32_e32 v15, v36, v15
	v_mul_f32_e32 v36, 0x3f2c7751, v11
	v_add_f32_e32 v16, v49, v16
	;; [unrolled: 6-line block ×4, first 2 shown]
	v_mov_b32_e32 v49, v36
	v_fma_f32 v36, v10, s17, -v36
	v_add_f32_e32 v21, v36, v21
	v_mul_f32_e32 v36, 0x3f7ee86f, v11
	v_mov_b32_e32 v51, v36
	v_fma_f32 v36, v10, s6, -v36
	v_fmac_f32_e32 v49, 0xbf7ba420, v10
	v_add_f32_e32 v32, v36, v32
	v_mul_f32_e32 v36, 0xbeb8f4ab, v11
	v_add_f32_e32 v49, v49, v52
	v_mov_b32_e32 v52, v36
	v_fma_f32 v36, v10, s14, -v36
	v_mul_f32_e32 v11, 0xbf4c4adb, v11
	v_add_f32_e32 v34, v36, v34
	v_mov_b32_e32 v36, v11
	v_fmac_f32_e32 v51, 0x3dbcf732, v10
	v_fmac_f32_e32 v52, 0x3f6eb680, v10
	;; [unrolled: 1-line block ×3, first 2 shown]
	v_fma_f32 v10, v10, s15, -v11
	v_sub_f32_e32 v11, v48, v38
	v_add_f32_e32 v8, v10, v8
	v_add_f32_e32 v10, v50, v74
	v_mul_f32_e32 v38, 0xbf4c4adb, v11
	v_mov_b32_e32 v48, v38
	v_fma_f32 v38, v10, s15, -v38
	v_fmac_f32_e32 v48, 0xbf1a4643, v10
	v_add_f32_e32 v12, v38, v12
	v_mul_f32_e32 v38, 0x3f763a35, v11
	v_add_f32_e32 v14, v48, v14
	v_mov_b32_e32 v48, v38
	v_fma_f32 v38, v10, s9, -v38
	v_fmac_f32_e32 v48, 0xbe8c1d8e, v10
	v_add_f32_e32 v15, v38, v15
	v_mul_f32_e32 v38, 0xbeb8f4ab, v11
	v_add_f32_e32 v16, v48, v16
	;; [unrolled: 6-line block ×5, first 2 shown]
	v_mov_b32_e32 v49, v38
	v_fma_f32 v38, v10, s8, -v38
	v_add_f32_e32 v32, v38, v32
	v_mul_f32_e32 v38, 0xbe3c28d5, v11
	v_mov_b32_e32 v50, v38
	v_fma_f32 v38, v10, s17, -v38
	v_mul_f32_e32 v11, 0x3f65296c, v11
	v_add_f32_e32 v34, v38, v34
	v_mov_b32_e32 v38, v11
	v_add_f32_e32 v53, v53, v57
	v_fmac_f32_e32 v49, 0x3f3d2fb0, v10
	v_fmac_f32_e32 v50, 0xbf7ba420, v10
	;; [unrolled: 1-line block ×3, first 2 shown]
	v_fma_f32 v10, v10, s7, -v11
	v_sub_f32_e32 v11, v37, v40
	v_add_f32_e32 v36, v36, v53
	v_add_f32_e32 v8, v10, v8
	;; [unrolled: 1-line block ×3, first 2 shown]
	v_mul_f32_e32 v37, 0xbf06c442, v11
	v_add_f32_e32 v36, v38, v36
	v_mov_b32_e32 v38, v37
	v_fma_f32 v37, v10, s16, -v37
	v_fmac_f32_e32 v38, 0xbf59a7d5, v10
	v_add_f32_e32 v12, v37, v12
	v_mul_f32_e32 v37, 0x3f65296c, v11
	v_add_f32_e32 v14, v38, v14
	v_mov_b32_e32 v38, v37
	v_fma_f32 v37, v10, s7, -v37
	v_fmac_f32_e32 v38, 0x3ee437d1, v10
	v_add_f32_e32 v15, v37, v15
	;; [unrolled: 6-line block ×4, first 2 shown]
	v_mul_f32_e32 v37, 0xbeb8f4ab, v11
	v_add_f32_e32 v20, v38, v20
	v_mov_b32_e32 v38, v37
	v_fma_f32 v37, v10, s14, -v37
	v_add_f32_e32 v21, v37, v21
	v_mul_f32_e32 v37, 0xbe3c28d5, v11
	v_mov_b32_e32 v39, v37
	v_fma_f32 v37, v10, s17, -v37
	v_add_f32_e32 v32, v37, v32
	v_mul_f32_e32 v37, 0x3f2c7751, v11
	v_mov_b32_e32 v40, v37
	v_fma_f32 v37, v10, s8, -v37
	v_mul_f32_e32 v11, 0xbf763a35, v11
	v_add_f32_e32 v34, v37, v34
	v_mov_b32_e32 v37, v11
	v_fmac_f32_e32 v38, 0x3f6eb680, v10
	v_fmac_f32_e32 v39, 0xbf7ba420, v10
	;; [unrolled: 1-line block ×4, first 2 shown]
	v_fma_f32 v10, v10, s9, -v11
	v_sub_f32_e32 v9, v9, v33
	v_add_f32_e32 v8, v10, v8
	v_add_f32_e32 v10, v13, v35
	v_mul_f32_e32 v11, 0xbe3c28d5, v9
	v_mov_b32_e32 v13, v11
	v_fma_f32 v11, v10, s17, -v11
	v_add_f32_e32 v76, v11, v12
	v_mul_f32_e32 v11, 0x3eb8f4ab, v9
	v_mov_b32_e32 v12, v11
	v_fma_f32 v11, v10, s14, -v11
	v_fmac_f32_e32 v12, 0x3f6eb680, v10
	v_add_f32_e32 v80, v11, v15
	v_mul_f32_e32 v11, 0xbf06c442, v9
	v_add_f32_e32 v79, v12, v16
	v_mov_b32_e32 v12, v11
	v_fma_f32 v11, v10, s16, -v11
	v_fmac_f32_e32 v12, 0xbf59a7d5, v10
	v_add_f32_e32 v82, v11, v17
	v_mul_f32_e32 v11, 0x3f2c7751, v9
	v_add_f32_e32 v81, v12, v18
	;; [unrolled: 6-line block ×3, first 2 shown]
	v_mov_b32_e32 v12, v11
	v_fma_f32 v11, v10, s15, -v11
	v_add_f32_e32 v51, v51, v56
	v_add_f32_e32 v38, v38, v48
	v_fmac_f32_e32 v12, 0xbf1a4643, v10
	v_add_f32_e32 v86, v11, v21
	v_mul_f32_e32 v11, 0x3f65296c, v9
	v_add_f32_e32 v58, v85, v58
	v_add_f32_e32 v49, v49, v51
	;; [unrolled: 1-line block ×3, first 2 shown]
	v_mov_b32_e32 v12, v11
	v_fma_f32 v11, v10, s7, -v11
	v_add_f32_e32 v58, v75, v58
	v_add_f32_e32 v39, v39, v49
	v_fmac_f32_e32 v12, 0x3ee437d1, v10
	v_add_f32_e32 v90, v11, v32
	v_mul_f32_e32 v11, 0xbf763a35, v9
	v_add_f32_e32 v58, v59, v58
	v_add_f32_e32 v89, v12, v39
	v_mov_b32_e32 v12, v11
	v_fma_f32 v11, v10, s9, -v11
	v_mul_f32_e32 v9, 0x3f7ee86f, v9
	v_add_f32_e32 v52, v52, v58
	v_add_f32_e32 v96, v11, v34
	v_mov_b32_e32 v11, v9
	v_add_f32_e32 v50, v50, v52
	v_add_f32_e32 v36, v37, v36
	v_fmac_f32_e32 v11, 0x3dbcf732, v10
	v_add_f32_e32 v40, v40, v50
	v_fmac_f32_e32 v13, 0xbf7ba420, v10
	v_fmac_f32_e32 v12, 0xbe8c1d8e, v10
	v_add_f32_e32 v99, v11, v36
	v_fma_f32 v9, v10, s6, -v9
	v_add_u32_e32 v36, 0x400, v93
	v_add_u32_e32 v18, 0x200, v93
	;; [unrolled: 1-line block ×3, first 2 shown]
	v_add_f32_e32 v75, v13, v14
	v_add_f32_e32 v95, v12, v40
	;; [unrolled: 1-line block ×3, first 2 shown]
	s_waitcnt lgkmcnt(0)
	; wave barrier
	s_waitcnt lgkmcnt(0)
	ds_read_b32 v74, v0
	ds_read2_b32 v[10:11], v93 offset0:119 offset1:136
	ds_read2_b32 v[12:13], v93 offset0:221 offset1:238
	;; [unrolled: 1-line block ×17, first 2 shown]
	s_waitcnt lgkmcnt(0)
	; wave barrier
	s_waitcnt lgkmcnt(0)
	ds_write2_b32 v103, v107, v91 offset1:7
	ds_write2_b32 v103, v92, v97 offset0:14 offset1:21
	ds_write2_b32 v103, v100, v102 offset0:28 offset1:35
	;; [unrolled: 1-line block ×7, first 2 shown]
	ds_write_b32 v103, v88 offset:448
	ds_write2_b32 v105, v112, v75 offset1:7
	ds_write2_b32 v105, v79, v81 offset0:14 offset1:21
	ds_write2_b32 v105, v83, v85 offset0:28 offset1:35
	;; [unrolled: 1-line block ×7, first 2 shown]
	ds_write_b32 v105, v76 offset:448
	s_and_saveexec_b64 s[4:5], s[0:1]
	s_cbranch_execz .LBB0_20
; %bb.19:
	v_add_f32_e32 v75, v6, v72
	v_add_f32_e32 v75, v75, v70
	;; [unrolled: 1-line block ×13, first 2 shown]
	v_sub_f32_e32 v68, v71, v68
	v_add_f32_e32 v75, v75, v62
	v_mul_f32_e32 v71, 0xbeb8f4ab, v68
	v_mul_f32_e32 v76, 0xbf2c7751, v68
	v_mul_f32_e32 v80, 0xbf65296c, v68
	v_mul_f32_e32 v82, 0xbf7ee86f, v68
	v_mul_f32_e32 v84, 0xbf763a35, v68
	v_mul_f32_e32 v86, 0xbf4c4adb, v68
	v_mul_f32_e32 v88, 0xbf06c442, v68
	v_mul_f32_e32 v68, 0xbe3c28d5, v68
	v_add_f32_e32 v75, v75, v66
	v_add_f32_e32 v72, v72, v73
	s_mov_b32 s8, 0x3f6eb680
	s_mov_b32 s6, 0x3f3d2fb0
	;; [unrolled: 1-line block ×8, first 2 shown]
	v_mov_b32_e32 v90, v68
	v_add_f32_e32 v75, v75, v73
	v_fma_f32 v73, v72, s8, -v71
	v_fmac_f32_e32 v71, 0x3f6eb680, v72
	v_fma_f32 v79, v72, s6, -v76
	v_fmac_f32_e32 v76, 0x3f3d2fb0, v72
	;; [unrolled: 2-line block ×7, first 2 shown]
	v_fmac_f32_e32 v90, 0xbf7ba420, v72
	v_fma_f32 v68, v72, s15, -v68
	v_sub_f32_e32 v65, v69, v65
	v_add_f32_e32 v71, v6, v71
	v_add_f32_e32 v73, v6, v73
	;; [unrolled: 1-line block ×17, first 2 shown]
	v_mul_f32_e32 v68, 0xbf2c7751, v65
	v_fma_f32 v69, v66, s6, -v68
	v_fmac_f32_e32 v68, 0x3f3d2fb0, v66
	v_mul_f32_e32 v70, 0xbf7ee86f, v65
	v_add_f32_e32 v68, v68, v71
	v_fma_f32 v71, v66, s0, -v70
	v_fmac_f32_e32 v70, 0x3dbcf732, v66
	v_mul_f32_e32 v72, 0xbf4c4adb, v65
	v_add_f32_e32 v69, v69, v73
	v_add_f32_e32 v70, v70, v76
	v_fma_f32 v73, v66, s9, -v72
	v_fmac_f32_e32 v72, 0xbf1a4643, v66
	v_mul_f32_e32 v76, 0xbe3c28d5, v65
	v_add_f32_e32 v71, v71, v79
	;; [unrolled: 5-line block ×4, first 2 shown]
	v_add_f32_e32 v80, v80, v84
	v_fma_f32 v83, v66, s7, -v82
	v_fmac_f32_e32 v82, 0xbe8c1d8e, v66
	v_mul_f32_e32 v84, 0x3f65296c, v65
	v_mul_f32_e32 v65, 0x3eb8f4ab, v65
	v_sub_f32_e32 v61, v64, v61
	v_add_f32_e32 v82, v82, v86
	v_mov_b32_e32 v86, v65
	v_fma_f32 v65, v66, s8, -v65
	v_add_f32_e32 v62, v67, v62
	v_mul_f32_e32 v64, 0xbf65296c, v61
	v_add_f32_e32 v81, v81, v85
	v_fma_f32 v85, v66, s1, -v84
	v_fmac_f32_e32 v84, 0x3ee437d1, v66
	v_fmac_f32_e32 v86, 0x3f6eb680, v66
	v_add_f32_e32 v6, v65, v6
	v_fma_f32 v65, v62, s1, -v64
	v_fmac_f32_e32 v64, 0x3ee437d1, v62
	v_mul_f32_e32 v66, 0xbf4c4adb, v61
	v_add_f32_e32 v64, v64, v68
	v_fma_f32 v67, v62, s9, -v66
	v_fmac_f32_e32 v66, 0xbf1a4643, v62
	v_mul_f32_e32 v68, 0x3e3c28d5, v61
	v_add_f32_e32 v65, v65, v69
	v_add_f32_e32 v66, v66, v70
	v_fma_f32 v69, v62, s15, -v68
	v_fmac_f32_e32 v68, 0xbf7ba420, v62
	v_mul_f32_e32 v70, 0x3f763a35, v61
	v_add_f32_e32 v67, v67, v71
	;; [unrolled: 5-line block ×4, first 2 shown]
	v_add_f32_e32 v72, v72, v80
	v_fma_f32 v79, v62, s8, -v76
	v_fmac_f32_e32 v76, 0x3f6eb680, v62
	v_mul_f32_e32 v80, 0xbf7ee86f, v61
	v_mul_f32_e32 v61, 0xbf06c442, v61
	v_sub_f32_e32 v54, v54, v55
	v_add_f32_e32 v76, v76, v82
	v_mov_b32_e32 v82, v61
	v_fma_f32 v61, v62, s14, -v61
	v_add_f32_e32 v60, v63, v60
	v_mul_f32_e32 v55, 0xbf7ee86f, v54
	v_add_f32_e32 v73, v73, v81
	v_fma_f32 v81, v62, s0, -v80
	v_fmac_f32_e32 v80, 0x3dbcf732, v62
	v_fmac_f32_e32 v82, 0xbf59a7d5, v62
	v_add_f32_e32 v6, v61, v6
	v_fma_f32 v61, v60, s0, -v55
	v_fmac_f32_e32 v55, 0x3dbcf732, v60
	v_mul_f32_e32 v62, 0xbe3c28d5, v54
	v_add_f32_e32 v55, v55, v64
	v_fma_f32 v63, v60, s15, -v62
	v_fmac_f32_e32 v62, 0xbf7ba420, v60
	v_mul_f32_e32 v64, 0x3f763a35, v54
	v_add_f32_e32 v61, v61, v65
	v_add_f32_e32 v62, v62, v66
	v_fma_f32 v65, v60, s7, -v64
	v_fmac_f32_e32 v64, 0xbe8c1d8e, v60
	v_mul_f32_e32 v66, 0x3eb8f4ab, v54
	v_add_f32_e32 v63, v63, v67
	v_add_f32_e32 v64, v64, v68
	v_fma_f32 v67, v60, s8, -v66
	v_fmac_f32_e32 v66, 0x3f6eb680, v60
	v_mul_f32_e32 v68, 0xbf65296c, v54
	v_add_f32_e32 v65, v65, v69
	v_add_f32_e32 v66, v66, v70
	v_fma_f32 v69, v60, s1, -v68
	v_fmac_f32_e32 v68, 0x3ee437d1, v60
	v_mul_f32_e32 v70, 0xbf06c442, v54
	v_add_f32_e32 v67, v67, v71
	v_add_f32_e32 v68, v68, v72
	v_fma_f32 v71, v60, s14, -v70
	v_fmac_f32_e32 v70, 0xbf59a7d5, v60
	v_mul_f32_e32 v72, 0x3f4c4adb, v54
	v_mul_f32_e32 v54, 0x3f2c7751, v54
	v_sub_f32_e32 v44, v44, v46
	v_add_f32_e32 v70, v70, v76
	v_mov_b32_e32 v76, v54
	v_fma_f32 v54, v60, s6, -v54
	v_add_f32_e32 v45, v45, v47
	v_mul_f32_e32 v46, 0xbf763a35, v44
	v_add_f32_e32 v6, v54, v6
	v_fma_f32 v47, v45, s7, -v46
	v_fmac_f32_e32 v46, 0xbe8c1d8e, v45
	v_mul_f32_e32 v54, 0x3f06c442, v44
	v_add_f32_e32 v69, v69, v73
	v_fma_f32 v73, v60, s9, -v72
	v_fmac_f32_e32 v72, 0xbf1a4643, v60
	v_fmac_f32_e32 v76, 0x3f3d2fb0, v60
	v_add_f32_e32 v46, v46, v55
	v_fma_f32 v55, v45, s14, -v54
	v_fmac_f32_e32 v54, 0xbf59a7d5, v45
	v_mul_f32_e32 v60, 0x3f2c7751, v44
	v_add_f32_e32 v47, v47, v61
	v_add_f32_e32 v54, v54, v62
	v_fma_f32 v61, v45, s6, -v60
	v_fmac_f32_e32 v60, 0x3f3d2fb0, v45
	v_mul_f32_e32 v62, 0xbf65296c, v44
	v_add_f32_e32 v55, v55, v63
	v_add_f32_e32 v60, v60, v64
	v_fma_f32 v63, v45, s1, -v62
	v_fmac_f32_e32 v62, 0x3ee437d1, v45
	v_mul_f32_e32 v64, 0xbe3c28d5, v44
	v_add_f32_e32 v61, v61, v65
	v_add_f32_e32 v62, v62, v66
	v_fma_f32 v65, v45, s15, -v64
	v_fmac_f32_e32 v64, 0xbf7ba420, v45
	v_mul_f32_e32 v66, 0x3f7ee86f, v44
	v_add_f32_e32 v63, v63, v67
	v_add_f32_e32 v64, v64, v68
	v_fma_f32 v67, v45, s0, -v66
	v_fmac_f32_e32 v66, 0x3dbcf732, v45
	v_mul_f32_e32 v68, 0xbeb8f4ab, v44
	v_mul_f32_e32 v44, 0xbf4c4adb, v44
	v_sub_f32_e32 v29, v29, v31
	v_add_f32_e32 v66, v66, v70
	v_mov_b32_e32 v70, v44
	v_fma_f32 v44, v45, s9, -v44
	v_add_f32_e32 v30, v30, v42
	v_mul_f32_e32 v31, 0xbf4c4adb, v29
	v_add_f32_e32 v6, v44, v6
	v_fma_f32 v42, v30, s9, -v31
	v_fmac_f32_e32 v31, 0xbf1a4643, v30
	v_mul_f32_e32 v44, 0x3f763a35, v29
	v_add_f32_e32 v65, v65, v69
	v_fma_f32 v69, v45, s8, -v68
	v_fmac_f32_e32 v68, 0x3f6eb680, v45
	v_fmac_f32_e32 v70, 0xbf1a4643, v45
	;; [unrolled: 39-line block ×4, first 2 shown]
	v_add_f32_e32 v23, v23, v27
	v_fma_f32 v26, v22, s8, -v25
	v_fmac_f32_e32 v25, 0x3f6eb680, v22
	v_mul_f32_e32 v27, 0xbf06c442, v7
	v_add_f32_e32 v24, v24, v28
	v_add_f32_e32 v25, v25, v29
	v_fma_f32 v28, v22, s14, -v27
	v_fmac_f32_e32 v27, 0xbf59a7d5, v22
	v_mul_f32_e32 v29, 0x3f2c7751, v7
	v_add_f32_e32 v26, v26, v30
	;; [unrolled: 5-line block ×4, first 2 shown]
	v_add_f32_e32 v30, v30, v45
	v_add_f32_e32 v31, v31, v46
	v_fma_f32 v45, v22, s1, -v44
	v_fmac_f32_e32 v44, 0x3ee437d1, v22
	v_mul_f32_e32 v46, 0xbf763a35, v7
	v_mul_f32_e32 v7, 0x3f7ee86f, v7
	v_add_f32_e32 v83, v83, v87
	v_add_f32_e32 v85, v85, v89
	;; [unrolled: 1-line block ×5, first 2 shown]
	v_mov_b32_e32 v54, v7
	v_fma_f32 v7, v22, s0, -v7
	v_add_f32_e32 v79, v79, v83
	v_add_f32_e32 v81, v81, v85
	;; [unrolled: 1-line block ×5, first 2 shown]
	v_mov_b32_e32 v7, 2
	v_add_f32_e32 v71, v71, v79
	v_add_f32_e32 v73, v73, v81
	;; [unrolled: 1-line block ×4, first 2 shown]
	v_lshlrev_b32_sdwa v7, v7, v43 dst_sel:DWORD dst_unused:UNUSED_PAD src0_sel:DWORD src1_sel:BYTE_0
	v_add_f32_e32 v67, v67, v71
	v_add_f32_e32 v69, v69, v73
	;; [unrolled: 1-line block ×4, first 2 shown]
	v_add3_u32 v7, 0, v7, v124
	v_add_f32_e32 v63, v63, v67
	v_add_f32_e32 v65, v65, v69
	;; [unrolled: 1-line block ×5, first 2 shown]
	v_fma_f32 v47, v22, s7, -v46
	v_fmac_f32_e32 v46, 0xbe8c1d8e, v22
	v_fmac_f32_e32 v54, 0x3dbcf732, v22
	v_add_u32_e32 v22, 0x400, v7
	v_add_f32_e32 v55, v55, v63
	v_add_f32_e32 v61, v61, v65
	;; [unrolled: 1-line block ×4, first 2 shown]
	ds_write2_b32 v22, v75, v23 offset0:220 offset1:227
	ds_write2_b32 v22, v25, v27 offset0:234 offset1:241
	;; [unrolled: 1-line block ×3, first 2 shown]
	v_add_u32_e32 v22, 0x800, v7
	v_add_f32_e32 v45, v45, v55
	v_add_f32_e32 v47, v47, v61
	;; [unrolled: 1-line block ×3, first 2 shown]
	ds_write2_b32 v22, v44, v46 offset0:6 offset1:13
	ds_write2_b32 v22, v54, v6 offset0:20 offset1:27
	;; [unrolled: 1-line block ×5, first 2 shown]
	ds_write_b32 v7, v24 offset:2352
.LBB0_20:
	s_or_b64 exec, exec, s[4:5]
	s_waitcnt lgkmcnt(0)
	; wave barrier
	s_waitcnt lgkmcnt(0)
	s_and_saveexec_b64 s[0:1], vcc
	s_cbranch_execz .LBB0_22
; %bb.21:
	v_add_u32_e32 v6, 0x198, v3
	v_mov_b32_e32 v7, 0
	v_lshlrev_b64 v[22:23], 3, v[6:7]
	v_mov_b32_e32 v70, s13
	v_add_co_u32_e32 v30, vcc, s12, v22
	v_addc_co_u32_e32 v31, vcc, v70, v23, vcc
	global_load_dwordx4 v[22:25], v[30:31], off offset:896
	global_load_dwordx4 v[26:29], v[30:31], off offset:912
	v_add_u32_e32 v6, 0x154, v3
	v_mul_lo_u32 v60, s3, v4
	v_mul_lo_u32 v61, s2, v5
	v_mad_u64_u32 v[44:45], s[0:1], s2, v4, 0
	v_lshlrev_b64 v[30:31], 3, v[6:7]
	ds_read2_b32 v[4:5], v93 offset0:221 offset1:238
	v_add_co_u32_e32 v30, vcc, s12, v30
	v_addc_co_u32_e32 v31, vcc, v70, v31, vcc
	v_add_u32_e32 v71, 0x400, v93
	v_add_u32_e32 v87, 0x800, v93
	ds_read2_b32 v[68:69], v93 offset0:85 offset1:102
	ds_read2_b32 v[42:43], v71 offset0:67 offset1:84
	ds_read2_b32 v[46:47], v87 offset0:49 offset1:66
	ds_read2_b32 v[54:55], v71 offset0:203 offset1:220
	v_add3_u32 v45, v45, v61, v60
	global_load_dwordx4 v[60:63], v[30:31], off offset:912
	global_load_dwordx4 v[64:67], v[30:31], off offset:896
	s_mov_b32 s0, 0x44d72045
	s_movk_i32 s1, 0x77
	v_lshlrev_b64 v[44:45], 3, v[44:45]
	s_movk_i32 s2, 0x253
	s_waitcnt vmcnt(3)
	v_mul_f32_e32 v6, v12, v23
	v_mul_f32_e32 v30, v39, v25
	s_waitcnt vmcnt(2)
	v_mul_f32_e32 v31, v37, v29
	s_waitcnt lgkmcnt(4)
	v_mul_f32_e32 v23, v4, v23
	v_fmac_f32_e32 v6, v4, v22
	s_waitcnt lgkmcnt(2)
	v_fmac_f32_e32 v30, v43, v24
	s_waitcnt lgkmcnt(1)
	v_fmac_f32_e32 v31, v47, v28
	v_mul_f32_e32 v72, v8, v27
	v_mul_f32_e32 v29, v47, v29
	v_fma_f32 v12, v12, v22, -v23
	v_sub_f32_e32 v22, v6, v30
	v_sub_f32_e32 v47, v6, v31
	;; [unrolled: 1-line block ×3, first 2 shown]
	v_add_f32_e32 v76, v6, v31
	v_add_f32_e32 v6, v6, v69
	v_mul_f32_e32 v25, v43, v25
	s_waitcnt lgkmcnt(0)
	v_mul_f32_e32 v27, v54, v27
	v_fmac_f32_e32 v72, v54, v26
	v_add_f32_e32 v6, v30, v6
	v_fma_f32 v4, v39, v24, -v25
	v_fma_f32 v8, v8, v26, -v27
	;; [unrolled: 1-line block ×3, first 2 shown]
	v_add_f32_e32 v6, v72, v6
	v_sub_f32_e32 v23, v31, v72
	v_add_f32_e32 v24, v30, v72
	v_sub_f32_e32 v25, v12, v4
	v_sub_f32_e32 v26, v37, v8
	;; [unrolled: 1-line block ×3, first 2 shown]
	v_add_f32_e32 v31, v31, v6
	v_add_u32_e32 v6, 0x110, v3
	v_add_f32_e32 v27, v4, v8
	v_fma_f32 v29, -0.5, v24, v69
	v_add_f32_e32 v88, v25, v26
	v_add_f32_e32 v73, v73, v75
	v_fma_f32 v25, -0.5, v76, v69
	v_lshlrev_b64 v[75:76], 3, v[6:7]
	v_sub_f32_e32 v39, v4, v8
	v_sub_f32_e32 v43, v12, v37
	v_add_f32_e32 v82, v22, v23
	v_fma_f32 v28, -0.5, v27, v49
	v_mov_b32_e32 v23, v29
	v_mov_b32_e32 v27, v25
	v_fmac_f32_e32 v23, 0x3f737871, v43
	v_fmac_f32_e32 v27, 0x3f737871, v39
	v_fmac_f32_e32 v25, 0xbf737871, v39
	v_fmac_f32_e32 v29, 0xbf737871, v43
	v_add_co_u32_e32 v75, vcc, s12, v75
	v_sub_f32_e32 v79, v4, v12
	v_sub_f32_e32 v80, v8, v37
	v_add_f32_e32 v81, v12, v37
	v_fmac_f32_e32 v23, 0x3f167918, v39
	v_fmac_f32_e32 v27, 0xbf167918, v43
	;; [unrolled: 1-line block ×4, first 2 shown]
	v_addc_co_u32_e32 v76, vcc, v70, v76, vcc
	v_sub_f32_e32 v54, v30, v72
	v_add_f32_e32 v69, v79, v80
	v_fma_f32 v24, -0.5, v81, v49
	v_fmac_f32_e32 v23, 0x3e9e377a, v82
	v_fmac_f32_e32 v27, 0x3e9e377a, v73
	;; [unrolled: 1-line block ×4, first 2 shown]
	ds_read2_b32 v[72:73], v93 offset0:187 offset1:204
	global_load_dwordx4 v[79:82], v[75:76], off offset:912
	global_load_dwordx4 v[83:86], v[75:76], off offset:896
	ds_read2_b32 v[75:76], v71 offset0:169 offset1:186
	v_add_f32_e32 v12, v49, v12
	v_add_f32_e32 v4, v12, v4
	;; [unrolled: 1-line block ×4, first 2 shown]
	s_waitcnt vmcnt(2)
	v_mul_f32_e32 v4, v57, v65
	v_mul_f32_e32 v6, v38, v67
	;; [unrolled: 1-line block ×4, first 2 shown]
	s_waitcnt lgkmcnt(1)
	v_fmac_f32_e32 v4, v73, v64
	v_fmac_f32_e32 v6, v42, v66
	;; [unrolled: 1-line block ×3, first 2 shown]
	s_waitcnt lgkmcnt(0)
	v_fmac_f32_e32 v49, v76, v60
	v_mov_b32_e32 v22, v28
	v_sub_f32_e32 v8, v4, v6
	v_sub_f32_e32 v37, v12, v49
	v_mov_b32_e32 v26, v24
	v_fmac_f32_e32 v22, 0xbf737871, v47
	v_fmac_f32_e32 v28, 0x3f737871, v47
	v_add_f32_e32 v8, v8, v37
	v_mul_f32_e32 v37, v42, v67
	v_fmac_f32_e32 v26, 0xbf737871, v54
	v_fmac_f32_e32 v22, 0xbf167918, v54
	;; [unrolled: 1-line block ×4, first 2 shown]
	v_fma_f32 v54, v38, v66, -v37
	v_mul_f32_e32 v37, v76, v61
	v_fma_f32 v59, v59, v60, -v37
	v_mul_f32_e32 v37, v73, v65
	;; [unrolled: 2-line block ×3, first 2 shown]
	v_fma_f32 v61, v36, v62, -v37
	v_add_f32_e32 v36, v6, v49
	v_fma_f32 v43, -0.5, v36, v68
	v_sub_f32_e32 v36, v57, v54
	v_sub_f32_e32 v38, v61, v59
	v_add_f32_e32 v63, v36, v38
	v_sub_f32_e32 v38, v6, v4
	v_sub_f32_e32 v39, v49, v12
	;; [unrolled: 1-line block ×3, first 2 shown]
	v_add_f32_e32 v66, v38, v39
	v_add_f32_e32 v38, v4, v12
	;; [unrolled: 1-line block ×5, first 2 shown]
	v_fmac_f32_e32 v26, 0x3f167918, v47
	v_fmac_f32_e32 v24, 0xbf167918, v47
	v_sub_f32_e32 v62, v57, v61
	v_mov_b32_e32 v37, v43
	v_sub_f32_e32 v65, v6, v49
	v_fma_f32 v47, -0.5, v38, v68
	v_sub_f32_e32 v38, v54, v57
	v_sub_f32_e32 v46, v59, v61
	v_add_f32_e32 v49, v12, v4
	v_add_f32_e32 v4, v48, v57
	v_sub_f32_e32 v60, v54, v59
	v_fmac_f32_e32 v37, 0x3f737871, v62
	v_mov_b32_e32 v39, v47
	v_add_f32_e32 v67, v38, v46
	v_add_f32_e32 v38, v57, v61
	;; [unrolled: 1-line block ×3, first 2 shown]
	v_fmac_f32_e32 v43, 0xbf737871, v62
	v_add_u32_e32 v6, 0xcc, v3
	v_fmac_f32_e32 v37, 0x3f167918, v60
	v_add_f32_e32 v36, v54, v59
	v_fmac_f32_e32 v39, 0xbf737871, v60
	v_fma_f32 v46, -0.5, v38, v48
	v_add_f32_e32 v4, v4, v59
	v_fmac_f32_e32 v47, 0x3f737871, v60
	v_fmac_f32_e32 v43, 0xbf167918, v60
	v_lshlrev_b64 v[59:60], 3, v[6:7]
	v_fmac_f32_e32 v26, 0x3e9e377a, v69
	v_fmac_f32_e32 v24, 0x3e9e377a, v69
	v_fma_f32 v42, -0.5, v36, v48
	v_mov_b32_e32 v38, v46
	ds_read2_b32 v[68:69], v71 offset0:33 offset1:50
	ds_read2_b32 v[91:92], v87 offset0:15 offset1:32
	v_mov_b32_e32 v36, v42
	v_fmac_f32_e32 v38, 0x3f737871, v65
	v_fmac_f32_e32 v46, 0xbf737871, v65
	v_add_co_u32_e32 v59, vcc, s12, v59
	v_fmac_f32_e32 v36, 0xbf737871, v64
	v_fmac_f32_e32 v39, 0x3f167918, v62
	;; [unrolled: 1-line block ×6, first 2 shown]
	v_addc_co_u32_e32 v60, vcc, v70, v60, vcc
	v_fmac_f32_e32 v22, 0x3e9e377a, v88
	v_fmac_f32_e32 v28, 0x3e9e377a, v88
	;; [unrolled: 1-line block ×8, first 2 shown]
	global_load_dwordx4 v[64:67], v[59:60], off offset:912
	global_load_dwordx4 v[87:90], v[59:60], off offset:896
	v_fmac_f32_e32 v37, 0x3e9e377a, v8
	v_add_f32_e32 v48, v61, v4
	v_fmac_f32_e32 v43, 0x3e9e377a, v8
	s_waitcnt vmcnt(2)
	v_mul_f32_e32 v4, v56, v84
	v_mul_f32_e32 v8, v53, v86
	;; [unrolled: 1-line block ×4, first 2 shown]
	v_fmac_f32_e32 v4, v72, v83
	s_waitcnt lgkmcnt(1)
	v_fmac_f32_e32 v8, v69, v85
	s_waitcnt lgkmcnt(0)
	v_fmac_f32_e32 v62, v92, v81
	v_fmac_f32_e32 v6, v75, v79
	v_sub_f32_e32 v12, v4, v8
	v_sub_f32_e32 v54, v62, v6
	v_add_f32_e32 v12, v12, v54
	v_mul_f32_e32 v54, v69, v86
	v_fma_f32 v69, v53, v85, -v54
	v_mul_f32_e32 v53, v75, v80
	v_fma_f32 v75, v58, v79, -v53
	v_mul_f32_e32 v53, v72, v84
	ds_read2_b32 v[72:73], v93 offset0:51 offset1:68
	v_fma_f32 v76, v56, v83, -v53
	v_mul_f32_e32 v53, v92, v82
	v_fma_f32 v51, v51, v81, -v53
	v_add_f32_e32 v53, v8, v6
	s_waitcnt lgkmcnt(0)
	v_fma_f32 v59, -0.5, v53, v73
	v_sub_f32_e32 v53, v76, v69
	v_sub_f32_e32 v56, v51, v75
	v_add_f32_e32 v80, v53, v56
	v_sub_f32_e32 v56, v8, v4
	v_sub_f32_e32 v57, v6, v62
	v_add_f32_e32 v83, v56, v57
	v_add_f32_e32 v56, v4, v62
	v_sub_f32_e32 v81, v4, v62
	v_fma_f32 v61, -0.5, v56, v73
	v_add_f32_e32 v4, v4, v73
	v_fmac_f32_e32 v36, 0x3e9e377a, v63
	v_fmac_f32_e32 v42, 0x3e9e377a, v63
	v_sub_f32_e32 v63, v69, v75
	v_mov_b32_e32 v57, v61
	v_sub_f32_e32 v56, v69, v76
	v_sub_f32_e32 v60, v75, v51
	v_add_f32_e32 v4, v8, v4
	v_sub_f32_e32 v79, v76, v51
	v_mov_b32_e32 v54, v59
	v_add_f32_e32 v53, v69, v75
	v_sub_f32_e32 v82, v8, v6
	v_fmac_f32_e32 v57, 0xbf737871, v63
	v_add_f32_e32 v84, v56, v60
	v_add_f32_e32 v56, v76, v51
	v_fmac_f32_e32 v61, 0x3f737871, v63
	v_add_f32_e32 v4, v6, v4
	v_lshlrev_b32_e32 v6, 2, v78
	v_fmac_f32_e32 v54, 0x3f737871, v79
	v_fma_f32 v58, -0.5, v53, v41
	v_fmac_f32_e32 v57, 0x3f167918, v79
	v_fma_f32 v60, -0.5, v56, v41
	v_fmac_f32_e32 v61, 0xbf167918, v79
	v_fmac_f32_e32 v59, 0xbf737871, v79
	v_lshlrev_b64 v[78:79], 3, v[6:7]
	v_mov_b32_e32 v53, v58
	v_mov_b32_e32 v56, v60
	v_fmac_f32_e32 v54, 0x3f167918, v63
	v_fmac_f32_e32 v53, 0xbf737871, v81
	v_fmac_f32_e32 v56, 0x3f737871, v82
	v_fmac_f32_e32 v60, 0xbf737871, v82
	v_fmac_f32_e32 v59, 0xbf167918, v63
	v_fmac_f32_e32 v58, 0x3f737871, v81
	v_add_f32_e32 v63, v62, v4
	v_add_f32_e32 v4, v41, v76
	v_add_co_u32_e32 v94, vcc, s12, v78
	v_fmac_f32_e32 v53, 0xbf167918, v82
	v_fmac_f32_e32 v56, 0xbf167918, v81
	;; [unrolled: 1-line block ×4, first 2 shown]
	v_add_f32_e32 v4, v4, v69
	v_addc_co_u32_e32 v95, vcc, v70, v79, vcc
	v_fmac_f32_e32 v53, 0x3e9e377a, v80
	v_fmac_f32_e32 v57, 0x3e9e377a, v83
	;; [unrolled: 1-line block ×6, first 2 shown]
	v_add_f32_e32 v4, v4, v75
	ds_read2_b32 v[75:76], v93 offset0:153 offset1:170
	global_load_dwordx4 v[78:81], v[94:95], off offset:912
	global_load_dwordx4 v[82:85], v[94:95], off offset:896
	ds_read2_b32 v[98:99], v71 offset0:135 offset1:152
	v_fmac_f32_e32 v54, 0x3e9e377a, v12
	v_fmac_f32_e32 v59, 0x3e9e377a, v12
	v_add_f32_e32 v62, v51, v4
	s_waitcnt vmcnt(2)
	v_mul_f32_e32 v4, v33, v88
	v_mul_f32_e32 v6, v52, v90
	;; [unrolled: 1-line block ×4, first 2 shown]
	s_waitcnt lgkmcnt(1)
	v_fmac_f32_e32 v4, v76, v87
	v_fmac_f32_e32 v6, v68, v89
	;; [unrolled: 1-line block ×3, first 2 shown]
	s_waitcnt lgkmcnt(0)
	v_fmac_f32_e32 v41, v99, v64
	v_sub_f32_e32 v8, v4, v6
	v_sub_f32_e32 v51, v12, v41
	v_add_f32_e32 v8, v8, v51
	v_mul_f32_e32 v51, v68, v90
	v_fma_f32 v52, v52, v89, -v51
	v_mul_f32_e32 v51, v99, v65
	v_fma_f32 v35, v35, v64, -v51
	;; [unrolled: 2-line block ×4, first 2 shown]
	v_add_f32_e32 v50, v6, v41
	v_fma_f32 v67, -0.5, v50, v72
	v_sub_f32_e32 v50, v33, v52
	v_sub_f32_e32 v64, v76, v35
	v_add_f32_e32 v87, v50, v64
	v_sub_f32_e32 v64, v6, v4
	v_sub_f32_e32 v65, v41, v12
	;; [unrolled: 1-line block ×3, first 2 shown]
	v_add_f32_e32 v90, v64, v65
	v_add_f32_e32 v64, v4, v12
	v_add_f32_e32 v4, v4, v72
	v_fma_f32 v69, -0.5, v64, v72
	v_sub_f32_e32 v64, v52, v33
	v_sub_f32_e32 v68, v35, v76
	v_add_f32_e32 v4, v6, v4
	v_add_f32_e32 v91, v64, v68
	;; [unrolled: 1-line block ×4, first 2 shown]
	v_sub_f32_e32 v89, v6, v41
	v_fma_f32 v68, -0.5, v64, v40
	v_add_f32_e32 v41, v12, v4
	v_add_f32_e32 v4, v40, v33
	v_sub_f32_e32 v73, v52, v35
	v_mov_b32_e32 v65, v69
	v_mov_b32_e32 v64, v68
	v_add_f32_e32 v4, v4, v52
	v_sub_f32_e32 v86, v33, v76
	v_mov_b32_e32 v51, v67
	v_add_f32_e32 v50, v52, v35
	v_fmac_f32_e32 v65, 0xbf737871, v73
	v_fmac_f32_e32 v64, 0x3f737871, v89
	v_fmac_f32_e32 v69, 0x3f737871, v73
	v_fmac_f32_e32 v68, 0xbf737871, v89
	v_add_f32_e32 v4, v4, v35
	v_fmac_f32_e32 v51, 0x3f737871, v86
	v_fma_f32 v66, -0.5, v50, v40
	v_fmac_f32_e32 v65, 0x3f167918, v86
	v_fmac_f32_e32 v64, 0xbf167918, v88
	;; [unrolled: 1-line block ×5, first 2 shown]
	v_add_f32_e32 v40, v76, v4
	v_add_u32_e32 v4, 0x200, v93
	v_fmac_f32_e32 v51, 0x3f167918, v73
	v_fmac_f32_e32 v65, 0x3e9e377a, v90
	;; [unrolled: 1-line block ×6, first 2 shown]
	ds_read2_b32 v[72:73], v4 offset0:127 offset1:144
	ds_read2_b32 v[90:91], v71 offset0:237 offset1:254
	v_lshlrev_b32_e32 v6, 2, v77
	v_fmac_f32_e32 v51, 0x3e9e377a, v8
	v_fmac_f32_e32 v67, 0x3e9e377a, v8
	v_lshlrev_b64 v[76:77], 3, v[6:7]
	s_waitcnt vmcnt(1)
	v_mul_f32_e32 v52, v19, v81
	s_waitcnt vmcnt(0)
	v_mul_f32_e32 v4, v32, v83
	v_mul_f32_e32 v8, v21, v85
	;; [unrolled: 1-line block ×3, first 2 shown]
	v_fmac_f32_e32 v4, v75, v82
	s_waitcnt lgkmcnt(1)
	v_fmac_f32_e32 v8, v73, v84
	s_waitcnt lgkmcnt(0)
	v_fmac_f32_e32 v52, v91, v80
	v_fmac_f32_e32 v6, v98, v78
	v_mov_b32_e32 v50, v66
	v_sub_f32_e32 v12, v4, v8
	v_sub_f32_e32 v33, v52, v6
	v_fmac_f32_e32 v50, 0xbf737871, v88
	v_fmac_f32_e32 v66, 0x3f737871, v88
	v_add_co_u32_e32 v76, vcc, s12, v76
	v_add_f32_e32 v12, v12, v33
	v_mul_f32_e32 v33, v73, v85
	v_fmac_f32_e32 v50, 0xbf167918, v89
	v_fmac_f32_e32 v66, 0x3f167918, v89
	v_addc_co_u32_e32 v77, vcc, v70, v77, vcc
	v_fma_f32 v21, v21, v84, -v33
	v_mul_f32_e32 v33, v98, v79
	v_fmac_f32_e32 v50, 0x3e9e377a, v87
	v_fmac_f32_e32 v66, 0x3e9e377a, v87
	global_load_dwordx4 v[86:89], v[76:77], off offset:912
	global_load_dwordx4 v[94:97], v[76:77], off offset:896
	v_fma_f32 v73, v34, v78, -v33
	ds_read2_b32 v[34:35], v93 offset0:17 offset1:34
	v_mul_f32_e32 v33, v75, v83
	v_fma_f32 v75, v32, v82, -v33
	v_mul_f32_e32 v32, v91, v81
	v_fma_f32 v19, v19, v80, -v32
	v_add_f32_e32 v32, v8, v6
	s_waitcnt lgkmcnt(0)
	v_fma_f32 v84, -0.5, v32, v35
	v_sub_f32_e32 v32, v75, v21
	v_sub_f32_e32 v78, v19, v73
	v_add_f32_e32 v78, v32, v78
	v_add_f32_e32 v32, v21, v73
	v_fma_f32 v83, -0.5, v32, v17
	v_sub_f32_e32 v77, v75, v19
	v_mov_b32_e32 v33, v84
	v_sub_f32_e32 v79, v4, v52
	v_mov_b32_e32 v32, v83
	v_sub_f32_e32 v76, v21, v73
	v_fmac_f32_e32 v33, 0x3f737871, v77
	v_fmac_f32_e32 v32, 0xbf737871, v79
	v_sub_f32_e32 v80, v8, v6
	v_fmac_f32_e32 v84, 0xbf737871, v77
	v_fmac_f32_e32 v83, 0x3f737871, v79
	;; [unrolled: 1-line block ×10, first 2 shown]
	v_sub_f32_e32 v12, v8, v4
	v_sub_f32_e32 v78, v6, v52
	v_add_f32_e32 v12, v12, v78
	v_add_f32_e32 v78, v4, v52
	;; [unrolled: 1-line block ×6, first 2 shown]
	v_sub_f32_e32 v4, v21, v75
	v_sub_f32_e32 v6, v73, v19
	v_add_f32_e32 v4, v4, v6
	v_add_f32_e32 v6, v75, v19
	v_fma_f32 v91, -0.5, v6, v17
	v_mov_b32_e32 v98, v91
	v_fmac_f32_e32 v98, 0x3f737871, v80
	v_fmac_f32_e32 v91, 0xbf737871, v80
	;; [unrolled: 1-line block ×6, first 2 shown]
	v_add_f32_e32 v4, v17, v75
	v_add_f32_e32 v6, v4, v21
	v_mov_b32_e32 v4, v7
	v_lshlrev_b64 v[3:4], 3, v[3:4]
	v_fma_f32 v92, -0.5, v78, v35
	v_mov_b32_e32 v99, v92
	v_add_co_u32_e32 v3, vcc, s12, v3
	v_fmac_f32_e32 v99, 0xbf737871, v76
	v_fmac_f32_e32 v92, 0x3f737871, v76
	v_addc_co_u32_e32 v4, vcc, v70, v4, vcc
	v_fmac_f32_e32 v99, 0x3f167918, v77
	v_fmac_f32_e32 v92, 0xbf167918, v77
	ds_read2_b32 v[102:103], v93 offset0:119 offset1:136
	global_load_dwordx4 v[75:78], v[3:4], off offset:912
	global_load_dwordx4 v[79:82], v[3:4], off offset:896
	v_add_f32_e32 v3, v6, v73
	v_add_f32_e32 v100, v19, v3
	ds_read2_b32 v[3:4], v71 offset0:101 offset1:118
	v_fmac_f32_e32 v99, 0x3e9e377a, v12
	v_fmac_f32_e32 v92, 0x3e9e377a, v12
	ds_read_b32 v0, v0
	s_waitcnt vmcnt(3)
	v_mul_f32_e32 v21, v18, v89
	s_waitcnt vmcnt(2)
	v_mul_f32_e32 v6, v11, v95
	v_mul_f32_e32 v8, v20, v97
	;; [unrolled: 1-line block ×3, first 2 shown]
	s_waitcnt lgkmcnt(2)
	v_fmac_f32_e32 v6, v103, v94
	v_fmac_f32_e32 v8, v72, v96
	;; [unrolled: 1-line block ×3, first 2 shown]
	s_waitcnt lgkmcnt(1)
	v_fmac_f32_e32 v35, v4, v86
	v_sub_f32_e32 v12, v6, v8
	v_sub_f32_e32 v17, v21, v35
	v_add_f32_e32 v52, v12, v17
	v_mul_f32_e32 v12, v72, v97
	v_fma_f32 v72, v20, v96, -v12
	v_mul_f32_e32 v12, v103, v95
	v_fma_f32 v73, v11, v94, -v12
	;; [unrolled: 2-line block ×3, first 2 shown]
	v_add_f32_e32 v11, v8, v35
	v_mul_f32_e32 v4, v4, v87
	v_fma_f32 v12, -0.5, v11, v34
	v_sub_f32_e32 v19, v8, v6
	v_sub_f32_e32 v20, v35, v21
	v_fma_f32 v4, v15, v86, -v4
	v_sub_f32_e32 v86, v73, v85
	v_mov_b32_e32 v18, v12
	v_sub_f32_e32 v88, v6, v21
	v_add_f32_e32 v90, v19, v20
	v_add_f32_e32 v19, v6, v21
	;; [unrolled: 1-line block ×3, first 2 shown]
	v_sub_f32_e32 v15, v72, v4
	v_fmac_f32_e32 v18, 0x3f737871, v86
	v_fmac_f32_e32 v12, 0xbf737871, v86
	v_add_f32_e32 v6, v8, v6
	v_fmac_f32_e32 v18, 0x3f167918, v15
	v_sub_f32_e32 v11, v73, v72
	v_sub_f32_e32 v17, v85, v4
	v_fma_f32 v20, -0.5, v19, v34
	v_sub_f32_e32 v19, v72, v73
	v_sub_f32_e32 v70, v4, v85
	v_fmac_f32_e32 v12, 0xbf167918, v15
	v_add_f32_e32 v6, v35, v6
	v_fmac_f32_e32 v18, 0x3e9e377a, v52
	v_add_f32_e32 v87, v11, v17
	v_add_f32_e32 v11, v72, v4
	v_sub_f32_e32 v89, v8, v35
	v_mov_b32_e32 v71, v20
	v_add_f32_e32 v93, v19, v70
	v_add_f32_e32 v19, v73, v85
	v_fmac_f32_e32 v12, 0x3e9e377a, v52
	v_add_f32_e32 v35, v21, v6
	v_add_f32_e32 v6, v16, v73
	v_fma_f32 v11, -0.5, v11, v16
	v_fmac_f32_e32 v71, 0xbf737871, v15
	v_fma_f32 v19, -0.5, v19, v16
	v_fmac_f32_e32 v20, 0x3f737871, v15
	v_add_f32_e32 v6, v6, v72
	v_add_f32_e32 v4, v6, v4
	;; [unrolled: 1-line block ×3, first 2 shown]
	v_mov_b32_e32 v17, v11
	v_fmac_f32_e32 v11, 0x3f737871, v88
	v_fmac_f32_e32 v11, 0x3f167918, v89
	v_fmac_f32_e32 v11, 0x3e9e377a, v87
	v_mov_b32_e32 v70, v19
	v_fmac_f32_e32 v19, 0xbf737871, v89
	v_fmac_f32_e32 v20, 0xbf167918, v86
	;; [unrolled: 1-line block ×4, first 2 shown]
	s_waitcnt vmcnt(1)
	v_mul_f32_e32 v52, v14, v76
	s_waitcnt vmcnt(0)
	v_mul_f32_e32 v15, v10, v80
	v_mul_f32_e32 v16, v13, v82
	v_mul_f32_e32 v21, v9, v78
	v_fmac_f32_e32 v52, v3, v75
	v_mul_f32_e32 v3, v3, v76
	v_fmac_f32_e32 v15, v102, v79
	v_fmac_f32_e32 v16, v5, v81
	;; [unrolled: 1-line block ×3, first 2 shown]
	v_fma_f32 v75, v14, v75, -v3
	v_mul_f32_e32 v3, v102, v80
	v_sub_f32_e32 v4, v15, v16
	v_sub_f32_e32 v6, v21, v52
	v_fma_f32 v10, v10, v79, -v3
	v_mul_f32_e32 v3, v55, v78
	v_add_f32_e32 v72, v4, v6
	v_mul_f32_e32 v4, v5, v82
	v_fma_f32 v55, v9, v77, -v3
	v_sub_f32_e32 v8, v16, v15
	v_sub_f32_e32 v9, v52, v21
	v_fma_f32 v73, v13, v81, -v4
	v_add_f32_e32 v3, v16, v52
	v_add_f32_e32 v81, v8, v9
	;; [unrolled: 1-line block ×3, first 2 shown]
	s_waitcnt lgkmcnt(0)
	v_fma_f32 v4, -0.5, v3, v0
	v_sub_f32_e32 v79, v15, v21
	v_fma_f32 v9, -0.5, v8, v0
	v_add_f32_e32 v0, v15, v0
	v_mul_hi_u32 v15, v123, s0
	v_add_f32_e32 v0, v16, v0
	v_sub_f32_e32 v8, v73, v10
	v_sub_f32_e32 v13, v75, v55
	v_add_f32_e32 v0, v52, v0
	v_sub_f32_e32 v77, v10, v55
	v_sub_f32_e32 v3, v10, v73
	;; [unrolled: 1-line block ×3, first 2 shown]
	v_add_f32_e32 v82, v8, v13
	v_add_f32_e32 v8, v10, v55
	;; [unrolled: 1-line block ×4, first 2 shown]
	v_lshrrev_b32_e32 v10, 5, v15
	v_mul_lo_u32 v10, v10, s1
	v_add_f32_e32 v0, v0, v73
	v_add_f32_e32 v0, v0, v75
	;; [unrolled: 1-line block ×3, first 2 shown]
	v_mov_b32_e32 v0, s11
	v_add_co_u32_e32 v21, vcc, s10, v44
	v_addc_co_u32_e32 v44, vcc, v0, v45, vcc
	v_lshlrev_b64 v[0:1], 3, v[1:2]
	v_sub_u32_e32 v10, v123, v10
	v_add_u32_e32 v2, 17, v123
	v_add_co_u32_e32 v21, vcc, v21, v0
	v_lshlrev_b32_e32 v0, 3, v10
	v_mul_hi_u32 v10, v2, s0
	v_sub_f32_e32 v5, v55, v75
	v_add_f32_e32 v78, v3, v5
	v_add_f32_e32 v3, v73, v75
	v_lshrrev_b32_e32 v10, 5, v10
	v_mul_lo_u32 v45, v10, s1
	v_fma_f32 v3, -0.5, v3, v74
	v_sub_f32_e32 v76, v73, v75
	v_mov_b32_e32 v5, v3
	v_fma_f32 v8, -0.5, v8, v74
	v_fmac_f32_e32 v3, 0x3f737871, v79
	v_addc_co_u32_e32 v44, vcc, v44, v1, vcc
	v_mov_b32_e32 v6, v4
	v_mov_b32_e32 v14, v9
	;; [unrolled: 1-line block ×3, first 2 shown]
	v_fmac_f32_e32 v9, 0x3f737871, v76
	v_fmac_f32_e32 v8, 0xbf737871, v80
	v_fmac_f32_e32 v4, 0xbf737871, v77
	v_fmac_f32_e32 v3, 0x3f167918, v80
	v_add_co_u32_e32 v0, vcc, v21, v0
	v_fmac_f32_e32 v9, 0xbf167918, v77
	v_fmac_f32_e32 v8, 0x3f167918, v79
	v_fmac_f32_e32 v4, 0xbf167918, v76
	v_fmac_f32_e32 v3, 0x3e9e377a, v78
	v_addc_co_u32_e32 v1, vcc, 0, v44, vcc
	v_sub_u32_e32 v2, v2, v45
	v_fmac_f32_e32 v9, 0x3e9e377a, v81
	v_fmac_f32_e32 v8, 0x3e9e377a, v82
	;; [unrolled: 1-line block ×3, first 2 shown]
	global_store_dwordx2 v[0:1], v[15:16], off
	global_store_dwordx2 v[0:1], v[3:4], off offset:952
	global_store_dwordx2 v[0:1], v[8:9], off offset:1904
	v_mad_u64_u32 v[2:3], s[4:5], v10, s2, v[2:3]
	v_fmac_f32_e32 v14, 0xbf737871, v76
	v_fmac_f32_e32 v13, 0x3f737871, v80
	;; [unrolled: 1-line block ×10, first 2 shown]
	v_mov_b32_e32 v3, v7
	v_fmac_f32_e32 v6, 0x3e9e377a, v72
	v_fmac_f32_e32 v5, 0x3e9e377a, v78
	global_store_dwordx2 v[0:1], v[13:14], off offset:2856
	global_store_dwordx2 v[0:1], v[5:6], off offset:3808
	v_lshlrev_b64 v[0:1], 3, v[2:3]
	v_add_u32_e32 v6, 0x77, v2
	v_add_co_u32_e32 v0, vcc, v21, v0
	v_addc_co_u32_e32 v1, vcc, v44, v1, vcc
	global_store_dwordx2 v[0:1], v[34:35], off
	v_lshlrev_b64 v[0:1], 3, v[6:7]
	v_add_u32_e32 v3, 34, v123
	v_add_co_u32_e32 v0, vcc, v21, v0
	v_mul_hi_u32 v4, v3, s0
	v_addc_co_u32_e32 v1, vcc, v44, v1, vcc
	v_add_u32_e32 v6, 0xee, v2
	global_store_dwordx2 v[0:1], v[11:12], off
	v_lshlrev_b64 v[0:1], 3, v[6:7]
	v_lshrrev_b32_e32 v4, 5, v4
	v_add_co_u32_e32 v0, vcc, v21, v0
	v_fmac_f32_e32 v19, 0x3e9e377a, v93
	v_addc_co_u32_e32 v1, vcc, v44, v1, vcc
	v_add_u32_e32 v6, 0x165, v2
	v_mul_lo_u32 v5, v4, s1
	global_store_dwordx2 v[0:1], v[19:20], off
	v_lshlrev_b64 v[0:1], 3, v[6:7]
	v_fmac_f32_e32 v70, 0x3f737871, v89
	v_fmac_f32_e32 v71, 0x3f167918, v86
	;; [unrolled: 1-line block ×3, first 2 shown]
	v_add_co_u32_e32 v0, vcc, v21, v0
	v_fmac_f32_e32 v71, 0x3e9e377a, v90
	v_fmac_f32_e32 v70, 0x3e9e377a, v93
	v_addc_co_u32_e32 v1, vcc, v44, v1, vcc
	v_add_u32_e32 v6, 0x1dc, v2
	v_sub_u32_e32 v2, v3, v5
	global_store_dwordx2 v[0:1], v[70:71], off
	v_lshlrev_b64 v[0:1], 3, v[6:7]
	v_mad_u64_u32 v[2:3], s[4:5], v4, s2, v[2:3]
	v_fmac_f32_e32 v17, 0xbf737871, v88
	v_fmac_f32_e32 v17, 0xbf167918, v89
	v_add_co_u32_e32 v0, vcc, v21, v0
	v_fmac_f32_e32 v17, 0x3e9e377a, v87
	v_addc_co_u32_e32 v1, vcc, v44, v1, vcc
	v_mov_b32_e32 v3, v7
	global_store_dwordx2 v[0:1], v[17:18], off
	v_lshlrev_b64 v[0:1], 3, v[2:3]
	v_add_u32_e32 v6, 0x77, v2
	v_add_co_u32_e32 v0, vcc, v21, v0
	v_addc_co_u32_e32 v1, vcc, v44, v1, vcc
	global_store_dwordx2 v[0:1], v[100:101], off
	v_lshlrev_b64 v[0:1], 3, v[6:7]
	v_add_u32_e32 v3, 51, v123
	v_add_co_u32_e32 v0, vcc, v21, v0
	v_mul_hi_u32 v4, v3, s0
	v_addc_co_u32_e32 v1, vcc, v44, v1, vcc
	v_add_u32_e32 v6, 0xee, v2
	global_store_dwordx2 v[0:1], v[83:84], off
	v_lshlrev_b64 v[0:1], 3, v[6:7]
	v_lshrrev_b32_e32 v4, 5, v4
	v_add_co_u32_e32 v0, vcc, v21, v0
	v_addc_co_u32_e32 v1, vcc, v44, v1, vcc
	v_add_u32_e32 v6, 0x165, v2
	v_mul_lo_u32 v5, v4, s1
	global_store_dwordx2 v[0:1], v[91:92], off
	v_lshlrev_b64 v[0:1], 3, v[6:7]
	v_add_u32_e32 v6, 0x1dc, v2
	v_add_co_u32_e32 v0, vcc, v21, v0
	v_addc_co_u32_e32 v1, vcc, v44, v1, vcc
	v_sub_u32_e32 v2, v3, v5
	global_store_dwordx2 v[0:1], v[98:99], off
	v_lshlrev_b64 v[0:1], 3, v[6:7]
	v_mad_u64_u32 v[2:3], s[4:5], v4, s2, v[2:3]
	v_add_co_u32_e32 v0, vcc, v21, v0
	v_addc_co_u32_e32 v1, vcc, v44, v1, vcc
	v_mov_b32_e32 v3, v7
	global_store_dwordx2 v[0:1], v[32:33], off
	v_lshlrev_b64 v[0:1], 3, v[2:3]
	v_add_u32_e32 v6, 0x77, v2
	v_add_co_u32_e32 v0, vcc, v21, v0
	v_addc_co_u32_e32 v1, vcc, v44, v1, vcc
	global_store_dwordx2 v[0:1], v[40:41], off
	v_lshlrev_b64 v[0:1], 3, v[6:7]
	v_add_u32_e32 v3, 0x44, v123
	v_add_co_u32_e32 v0, vcc, v21, v0
	v_mul_hi_u32 v4, v3, s0
	v_addc_co_u32_e32 v1, vcc, v44, v1, vcc
	v_add_u32_e32 v6, 0xee, v2
	global_store_dwordx2 v[0:1], v[66:67], off
	v_lshlrev_b64 v[0:1], 3, v[6:7]
	v_lshrrev_b32_e32 v4, 5, v4
	v_add_co_u32_e32 v0, vcc, v21, v0
	v_addc_co_u32_e32 v1, vcc, v44, v1, vcc
	v_add_u32_e32 v6, 0x165, v2
	v_mul_lo_u32 v5, v4, s1
	global_store_dwordx2 v[0:1], v[68:69], off
	v_lshlrev_b64 v[0:1], 3, v[6:7]
	v_add_u32_e32 v6, 0x1dc, v2
	v_add_co_u32_e32 v0, vcc, v21, v0
	v_addc_co_u32_e32 v1, vcc, v44, v1, vcc
	v_sub_u32_e32 v2, v3, v5
	global_store_dwordx2 v[0:1], v[64:65], off
	v_lshlrev_b64 v[0:1], 3, v[6:7]
	v_mad_u64_u32 v[2:3], s[4:5], v4, s2, v[2:3]
	v_add_co_u32_e32 v0, vcc, v21, v0
	;; [unrolled: 31-line block ×4, first 2 shown]
	v_addc_co_u32_e32 v1, vcc, v44, v1, vcc
	v_mov_b32_e32 v3, v7
	global_store_dwordx2 v[0:1], v[36:37], off
	v_lshlrev_b64 v[0:1], 3, v[2:3]
	v_add_u32_e32 v6, 0x77, v2
	v_add_co_u32_e32 v0, vcc, v21, v0
	v_addc_co_u32_e32 v1, vcc, v44, v1, vcc
	global_store_dwordx2 v[0:1], v[30:31], off
	v_lshlrev_b64 v[0:1], 3, v[6:7]
	v_add_u32_e32 v6, 0xee, v2
	v_add_co_u32_e32 v0, vcc, v21, v0
	v_addc_co_u32_e32 v1, vcc, v44, v1, vcc
	;; [unrolled: 5-line block ×4, first 2 shown]
	global_store_dwordx2 v[0:1], v[24:25], off
	v_lshlrev_b64 v[0:1], 3, v[6:7]
	v_add_co_u32_e32 v0, vcc, v21, v0
	v_addc_co_u32_e32 v1, vcc, v44, v1, vcc
	global_store_dwordx2 v[0:1], v[22:23], off
.LBB0_22:
	s_endpgm
	.section	.rodata,"a",@progbits
	.p2align	6, 0x0
	.amdhsa_kernel fft_rtc_fwd_len595_factors_7_17_5_wgs_51_tpt_17_halfLds_sp_op_CI_CI_unitstride_sbrr_dirReg
		.amdhsa_group_segment_fixed_size 0
		.amdhsa_private_segment_fixed_size 0
		.amdhsa_kernarg_size 104
		.amdhsa_user_sgpr_count 6
		.amdhsa_user_sgpr_private_segment_buffer 1
		.amdhsa_user_sgpr_dispatch_ptr 0
		.amdhsa_user_sgpr_queue_ptr 0
		.amdhsa_user_sgpr_kernarg_segment_ptr 1
		.amdhsa_user_sgpr_dispatch_id 0
		.amdhsa_user_sgpr_flat_scratch_init 0
		.amdhsa_user_sgpr_private_segment_size 0
		.amdhsa_uses_dynamic_stack 0
		.amdhsa_system_sgpr_private_segment_wavefront_offset 0
		.amdhsa_system_sgpr_workgroup_id_x 1
		.amdhsa_system_sgpr_workgroup_id_y 0
		.amdhsa_system_sgpr_workgroup_id_z 0
		.amdhsa_system_sgpr_workgroup_info 0
		.amdhsa_system_vgpr_workitem_id 0
		.amdhsa_next_free_vgpr 202
		.amdhsa_next_free_sgpr 28
		.amdhsa_reserve_vcc 1
		.amdhsa_reserve_flat_scratch 0
		.amdhsa_float_round_mode_32 0
		.amdhsa_float_round_mode_16_64 0
		.amdhsa_float_denorm_mode_32 3
		.amdhsa_float_denorm_mode_16_64 3
		.amdhsa_dx10_clamp 1
		.amdhsa_ieee_mode 1
		.amdhsa_fp16_overflow 0
		.amdhsa_exception_fp_ieee_invalid_op 0
		.amdhsa_exception_fp_denorm_src 0
		.amdhsa_exception_fp_ieee_div_zero 0
		.amdhsa_exception_fp_ieee_overflow 0
		.amdhsa_exception_fp_ieee_underflow 0
		.amdhsa_exception_fp_ieee_inexact 0
		.amdhsa_exception_int_div_zero 0
	.end_amdhsa_kernel
	.text
.Lfunc_end0:
	.size	fft_rtc_fwd_len595_factors_7_17_5_wgs_51_tpt_17_halfLds_sp_op_CI_CI_unitstride_sbrr_dirReg, .Lfunc_end0-fft_rtc_fwd_len595_factors_7_17_5_wgs_51_tpt_17_halfLds_sp_op_CI_CI_unitstride_sbrr_dirReg
                                        ; -- End function
	.section	.AMDGPU.csdata,"",@progbits
; Kernel info:
; codeLenInByte = 26184
; NumSgprs: 32
; NumVgprs: 202
; ScratchSize: 0
; MemoryBound: 0
; FloatMode: 240
; IeeeMode: 1
; LDSByteSize: 0 bytes/workgroup (compile time only)
; SGPRBlocks: 3
; VGPRBlocks: 50
; NumSGPRsForWavesPerEU: 32
; NumVGPRsForWavesPerEU: 202
; Occupancy: 1
; WaveLimiterHint : 1
; COMPUTE_PGM_RSRC2:SCRATCH_EN: 0
; COMPUTE_PGM_RSRC2:USER_SGPR: 6
; COMPUTE_PGM_RSRC2:TRAP_HANDLER: 0
; COMPUTE_PGM_RSRC2:TGID_X_EN: 1
; COMPUTE_PGM_RSRC2:TGID_Y_EN: 0
; COMPUTE_PGM_RSRC2:TGID_Z_EN: 0
; COMPUTE_PGM_RSRC2:TIDIG_COMP_CNT: 0
	.type	__hip_cuid_9b7bebf1c0cb2e77,@object ; @__hip_cuid_9b7bebf1c0cb2e77
	.section	.bss,"aw",@nobits
	.globl	__hip_cuid_9b7bebf1c0cb2e77
__hip_cuid_9b7bebf1c0cb2e77:
	.byte	0                               ; 0x0
	.size	__hip_cuid_9b7bebf1c0cb2e77, 1

	.ident	"AMD clang version 19.0.0git (https://github.com/RadeonOpenCompute/llvm-project roc-6.4.0 25133 c7fe45cf4b819c5991fe208aaa96edf142730f1d)"
	.section	".note.GNU-stack","",@progbits
	.addrsig
	.addrsig_sym __hip_cuid_9b7bebf1c0cb2e77
	.amdgpu_metadata
---
amdhsa.kernels:
  - .args:
      - .actual_access:  read_only
        .address_space:  global
        .offset:         0
        .size:           8
        .value_kind:     global_buffer
      - .offset:         8
        .size:           8
        .value_kind:     by_value
      - .actual_access:  read_only
        .address_space:  global
        .offset:         16
        .size:           8
        .value_kind:     global_buffer
      - .actual_access:  read_only
        .address_space:  global
        .offset:         24
        .size:           8
        .value_kind:     global_buffer
      - .actual_access:  read_only
        .address_space:  global
        .offset:         32
        .size:           8
        .value_kind:     global_buffer
      - .offset:         40
        .size:           8
        .value_kind:     by_value
      - .actual_access:  read_only
        .address_space:  global
        .offset:         48
        .size:           8
        .value_kind:     global_buffer
      - .actual_access:  read_only
        .address_space:  global
        .offset:         56
        .size:           8
        .value_kind:     global_buffer
      - .offset:         64
        .size:           4
        .value_kind:     by_value
      - .actual_access:  read_only
        .address_space:  global
        .offset:         72
        .size:           8
        .value_kind:     global_buffer
      - .actual_access:  read_only
        .address_space:  global
        .offset:         80
        .size:           8
        .value_kind:     global_buffer
      - .actual_access:  read_only
        .address_space:  global
        .offset:         88
        .size:           8
        .value_kind:     global_buffer
      - .actual_access:  write_only
        .address_space:  global
        .offset:         96
        .size:           8
        .value_kind:     global_buffer
    .group_segment_fixed_size: 0
    .kernarg_segment_align: 8
    .kernarg_segment_size: 104
    .language:       OpenCL C
    .language_version:
      - 2
      - 0
    .max_flat_workgroup_size: 51
    .name:           fft_rtc_fwd_len595_factors_7_17_5_wgs_51_tpt_17_halfLds_sp_op_CI_CI_unitstride_sbrr_dirReg
    .private_segment_fixed_size: 0
    .sgpr_count:     32
    .sgpr_spill_count: 0
    .symbol:         fft_rtc_fwd_len595_factors_7_17_5_wgs_51_tpt_17_halfLds_sp_op_CI_CI_unitstride_sbrr_dirReg.kd
    .uniform_work_group_size: 1
    .uses_dynamic_stack: false
    .vgpr_count:     202
    .vgpr_spill_count: 0
    .wavefront_size: 64
amdhsa.target:   amdgcn-amd-amdhsa--gfx906
amdhsa.version:
  - 1
  - 2
...

	.end_amdgpu_metadata
